;; amdgpu-corpus repo=ROCm/rocFFT kind=compiled arch=gfx1030 opt=O3
	.text
	.amdgcn_target "amdgcn-amd-amdhsa--gfx1030"
	.amdhsa_code_object_version 6
	.protected	fft_rtc_fwd_len289_factors_17_17_wgs_119_tpt_17_dp_ip_CI_sbcc_twdbase8_2step_dirReg_intrinsicRead ; -- Begin function fft_rtc_fwd_len289_factors_17_17_wgs_119_tpt_17_dp_ip_CI_sbcc_twdbase8_2step_dirReg_intrinsicRead
	.globl	fft_rtc_fwd_len289_factors_17_17_wgs_119_tpt_17_dp_ip_CI_sbcc_twdbase8_2step_dirReg_intrinsicRead
	.p2align	8
	.type	fft_rtc_fwd_len289_factors_17_17_wgs_119_tpt_17_dp_ip_CI_sbcc_twdbase8_2step_dirReg_intrinsicRead,@function
fft_rtc_fwd_len289_factors_17_17_wgs_119_tpt_17_dp_ip_CI_sbcc_twdbase8_2step_dirReg_intrinsicRead: ; @fft_rtc_fwd_len289_factors_17_17_wgs_119_tpt_17_dp_ip_CI_sbcc_twdbase8_2step_dirReg_intrinsicRead
; %bb.0:
	s_load_dwordx4 s[12:15], s[4:5], 0x18
	s_mov_b64 s[66:67], s[2:3]
	s_mov_b64 s[64:65], s[0:1]
	v_mov_b32_e32 v106, v0
	s_add_u32 s64, s64, s7
	s_addc_u32 s65, s65, 0
	s_mov_b64 s[22:23], 0
	s_waitcnt lgkmcnt(0)
	s_load_dwordx2 s[18:19], s[12:13], 0x8
	s_waitcnt lgkmcnt(0)
	s_add_u32 s0, s18, -1
	s_addc_u32 s1, s19, -1
	s_add_u32 s2, 0, 0x92481000
	s_addc_u32 s3, 0, 0x64
	s_mul_hi_u32 s8, s2, -7
	s_add_i32 s3, s3, 0x249248c0
	s_sub_i32 s8, s8, s2
	s_mul_i32 s10, s3, -7
	s_mul_i32 s7, s2, -7
	s_add_i32 s8, s8, s10
	s_mul_hi_u32 s9, s2, s7
	s_mul_i32 s16, s2, s8
	s_mul_hi_u32 s10, s2, s8
	s_mul_hi_u32 s11, s3, s7
	s_mul_i32 s7, s3, s7
	s_add_u32 s9, s9, s16
	s_addc_u32 s10, 0, s10
	s_mul_hi_u32 s17, s3, s8
	s_add_u32 s7, s9, s7
	s_mul_i32 s8, s3, s8
	s_addc_u32 s7, s10, s11
	s_addc_u32 s9, s17, 0
	s_add_u32 s7, s7, s8
	v_add_co_u32 v0, s2, s2, s7
	s_addc_u32 s7, 0, s9
	s_cmp_lg_u32 s2, 0
	s_addc_u32 s2, s3, s7
	v_readfirstlane_b32 s3, v0
	s_mul_i32 s8, s0, s2
	s_mul_hi_u32 s7, s0, s2
	s_mul_hi_u32 s9, s1, s2
	s_mul_i32 s2, s1, s2
	s_mul_hi_u32 s10, s0, s3
	s_mul_hi_u32 s11, s1, s3
	s_mul_i32 s3, s1, s3
	s_add_u32 s8, s10, s8
	s_addc_u32 s7, 0, s7
	s_add_u32 s3, s8, s3
	s_addc_u32 s3, s7, s11
	s_addc_u32 s7, s9, 0
	s_add_u32 s2, s3, s2
	s_addc_u32 s3, 0, s7
	s_mul_i32 s8, s2, 7
	s_add_u32 s7, s2, 1
	v_sub_co_u32 v0, s0, s0, s8
	s_mul_hi_u32 s8, s2, 7
	s_addc_u32 s9, s3, 0
	s_mul_i32 s10, s3, 7
	v_sub_co_u32 v1, s11, v0, 7
	s_add_u32 s16, s2, 2
	s_addc_u32 s17, s3, 0
	s_add_i32 s8, s8, s10
	s_cmp_lg_u32 s0, 0
	v_readfirstlane_b32 s0, v1
	s_subb_u32 s1, s1, s8
	s_cmp_lg_u32 s11, 0
	s_subb_u32 s8, s1, 0
	s_cmp_gt_u32 s0, 6
	s_cselect_b32 s0, -1, 0
	s_cmp_eq_u32 s8, 0
	v_readfirstlane_b32 s8, v0
	s_cselect_b32 s0, s0, -1
	s_cmp_lg_u32 s0, 0
	s_cselect_b32 s0, s16, s7
	s_cselect_b32 s9, s17, s9
	s_cmp_gt_u32 s8, 6
	s_cselect_b32 s7, -1, 0
	s_cmp_eq_u32 s1, 0
	s_cselect_b32 s1, s7, -1
	s_mov_b32 s7, 0
	s_cmp_lg_u32 s1, 0
	s_cselect_b32 s0, s0, s2
	s_cselect_b32 s1, s9, s3
	s_add_u32 s20, s0, 1
	s_addc_u32 s21, s1, 0
	v_cmp_lt_u64_e64 s0, s[6:7], s[20:21]
	s_and_b32 vcc_lo, exec_lo, s0
	s_cbranch_vccnz .LBB0_2
; %bb.1:
	v_cvt_f32_u32_e32 v0, s20
	s_sub_i32 s1, 0, s20
	s_mov_b32 s23, s7
	v_rcp_iflag_f32_e32 v0, v0
	v_mul_f32_e32 v0, 0x4f7ffffe, v0
	v_cvt_u32_f32_e32 v0, v0
	v_readfirstlane_b32 s0, v0
	s_mul_i32 s1, s1, s0
	s_mul_hi_u32 s1, s0, s1
	s_add_i32 s0, s0, s1
	s_mul_hi_u32 s0, s6, s0
	s_mul_i32 s1, s0, s20
	s_add_i32 s2, s0, 1
	s_sub_i32 s1, s6, s1
	s_sub_i32 s3, s1, s20
	s_cmp_ge_u32 s1, s20
	s_cselect_b32 s0, s2, s0
	s_cselect_b32 s1, s3, s1
	s_add_i32 s2, s0, 1
	s_cmp_ge_u32 s1, s20
	s_cselect_b32 s22, s2, s0
.LBB0_2:
	s_load_dwordx4 s[0:3], s[14:15], 0x0
	s_clause 0x2
	s_load_dwordx4 s[8:11], s[4:5], 0x8
	s_load_dwordx2 s[16:17], s[4:5], 0x0
	s_load_dwordx2 s[4:5], s[4:5], 0x58
	s_mul_i32 s24, s22, s21
	s_mul_hi_u32 s25, s22, s20
	s_mul_i32 s26, s22, s20
	s_add_i32 s25, s25, s24
	s_sub_u32 s36, s6, s26
	s_subb_u32 s24, 0, s25
	s_mul_hi_u32 s33, s36, 7
	s_mul_i32 s24, s24, 7
	s_mul_i32 s36, s36, 7
	s_add_i32 s33, s33, s24
	s_waitcnt lgkmcnt(0)
	s_mul_i32 s24, s2, s33
	v_cmp_lt_u64_e64 s26, s[10:11], 3
	s_mul_hi_u32 s25, s2, s36
	s_mul_i32 s38, s2, s36
	s_add_i32 s24, s25, s24
	s_mul_i32 s25, s3, s36
	s_add_i32 s37, s24, s25
	s_and_b32 vcc_lo, exec_lo, s26
	s_cbranch_vccnz .LBB0_12
; %bb.3:
	s_add_u32 s24, s14, 16
	s_addc_u32 s25, s15, 0
	s_add_u32 s12, s12, 16
	s_addc_u32 s13, s13, 0
	s_mov_b64 s[26:27], 2
	s_mov_b32 s28, 0
.LBB0_4:                                ; =>This Inner Loop Header: Depth=1
	s_load_dwordx2 s[30:31], s[12:13], 0x0
	s_waitcnt lgkmcnt(0)
	s_or_b64 s[34:35], s[22:23], s[30:31]
	s_mov_b32 s29, s35
                                        ; implicit-def: $sgpr34_sgpr35
	s_cmp_lg_u64 s[28:29], 0
	s_mov_b32 s29, -1
	s_cbranch_scc0 .LBB0_6
; %bb.5:                                ;   in Loop: Header=BB0_4 Depth=1
	v_cvt_f32_u32_e32 v0, s30
	v_cvt_f32_u32_e32 v1, s31
	s_sub_u32 s35, 0, s30
	s_subb_u32 s39, 0, s31
	v_fmac_f32_e32 v0, 0x4f800000, v1
	v_rcp_f32_e32 v0, v0
	v_mul_f32_e32 v0, 0x5f7ffffc, v0
	v_mul_f32_e32 v1, 0x2f800000, v0
	v_trunc_f32_e32 v1, v1
	v_fmac_f32_e32 v0, 0xcf800000, v1
	v_cvt_u32_f32_e32 v1, v1
	v_cvt_u32_f32_e32 v0, v0
	v_readfirstlane_b32 s29, v1
	v_readfirstlane_b32 s34, v0
	s_mul_i32 s40, s35, s29
	s_mul_hi_u32 s42, s35, s34
	s_mul_i32 s41, s39, s34
	s_add_i32 s40, s42, s40
	s_mul_i32 s43, s35, s34
	s_add_i32 s40, s40, s41
	s_mul_hi_u32 s42, s34, s43
	s_mul_hi_u32 s44, s29, s43
	s_mul_i32 s41, s29, s43
	s_mul_hi_u32 s43, s34, s40
	s_mul_i32 s34, s34, s40
	s_mul_hi_u32 s45, s29, s40
	s_add_u32 s34, s42, s34
	s_addc_u32 s42, 0, s43
	s_add_u32 s34, s34, s41
	s_mul_i32 s40, s29, s40
	s_addc_u32 s34, s42, s44
	s_addc_u32 s41, s45, 0
	s_add_u32 s34, s34, s40
	s_addc_u32 s40, 0, s41
	v_add_co_u32 v0, s34, v0, s34
	s_cmp_lg_u32 s34, 0
	s_addc_u32 s29, s29, s40
	v_readfirstlane_b32 s34, v0
	s_mul_i32 s40, s35, s29
	s_mul_hi_u32 s41, s35, s34
	s_mul_i32 s39, s39, s34
	s_add_i32 s40, s41, s40
	s_mul_i32 s35, s35, s34
	s_add_i32 s40, s40, s39
	s_mul_hi_u32 s41, s29, s35
	s_mul_i32 s42, s29, s35
	s_mul_hi_u32 s35, s34, s35
	s_mul_hi_u32 s43, s34, s40
	s_mul_i32 s34, s34, s40
	s_mul_hi_u32 s39, s29, s40
	s_add_u32 s34, s35, s34
	s_addc_u32 s35, 0, s43
	s_add_u32 s34, s34, s42
	s_mul_i32 s40, s29, s40
	s_addc_u32 s34, s35, s41
	s_addc_u32 s35, s39, 0
	s_add_u32 s34, s34, s40
	s_addc_u32 s35, 0, s35
	v_add_co_u32 v0, s34, v0, s34
	s_cmp_lg_u32 s34, 0
	s_addc_u32 s29, s29, s35
	v_readfirstlane_b32 s34, v0
	s_mul_i32 s39, s22, s29
	s_mul_hi_u32 s35, s22, s29
	s_mul_hi_u32 s40, s23, s29
	s_mul_i32 s29, s23, s29
	s_mul_hi_u32 s41, s22, s34
	s_mul_hi_u32 s42, s23, s34
	s_mul_i32 s34, s23, s34
	s_add_u32 s39, s41, s39
	s_addc_u32 s35, 0, s35
	s_add_u32 s34, s39, s34
	s_addc_u32 s34, s35, s42
	s_addc_u32 s35, s40, 0
	s_add_u32 s34, s34, s29
	s_addc_u32 s35, 0, s35
	s_mul_hi_u32 s29, s30, s34
	s_mul_i32 s40, s30, s35
	s_mul_i32 s41, s30, s34
	s_add_i32 s29, s29, s40
	v_sub_co_u32 v0, s40, s22, s41
	s_mul_i32 s39, s31, s34
	s_add_i32 s29, s29, s39
	v_sub_co_u32 v1, s41, v0, s30
	s_sub_i32 s39, s23, s29
	s_cmp_lg_u32 s40, 0
	s_subb_u32 s39, s39, s31
	s_cmp_lg_u32 s41, 0
	v_readfirstlane_b32 s41, v1
	s_subb_u32 s39, s39, 0
	s_cmp_ge_u32 s39, s31
	s_cselect_b32 s42, -1, 0
	s_cmp_ge_u32 s41, s30
	s_cselect_b32 s41, -1, 0
	s_cmp_eq_u32 s39, s31
	s_cselect_b32 s39, s41, s42
	s_add_u32 s41, s34, 1
	s_addc_u32 s42, s35, 0
	s_add_u32 s43, s34, 2
	s_addc_u32 s44, s35, 0
	s_cmp_lg_u32 s39, 0
	s_cselect_b32 s39, s43, s41
	s_cselect_b32 s41, s44, s42
	s_cmp_lg_u32 s40, 0
	v_readfirstlane_b32 s40, v0
	s_subb_u32 s29, s23, s29
	s_cmp_ge_u32 s29, s31
	s_cselect_b32 s42, -1, 0
	s_cmp_ge_u32 s40, s30
	s_cselect_b32 s40, -1, 0
	s_cmp_eq_u32 s29, s31
	s_cselect_b32 s29, s40, s42
	s_cmp_lg_u32 s29, 0
	s_mov_b32 s29, 0
	s_cselect_b32 s35, s41, s35
	s_cselect_b32 s34, s39, s34
.LBB0_6:                                ;   in Loop: Header=BB0_4 Depth=1
	s_andn2_b32 vcc_lo, exec_lo, s29
	s_cbranch_vccnz .LBB0_8
; %bb.7:                                ;   in Loop: Header=BB0_4 Depth=1
	v_cvt_f32_u32_e32 v0, s30
	s_sub_i32 s34, 0, s30
	v_rcp_iflag_f32_e32 v0, v0
	v_mul_f32_e32 v0, 0x4f7ffffe, v0
	v_cvt_u32_f32_e32 v0, v0
	v_readfirstlane_b32 s29, v0
	s_mul_i32 s34, s34, s29
	s_mul_hi_u32 s34, s29, s34
	s_add_i32 s29, s29, s34
	s_mul_hi_u32 s29, s22, s29
	s_mul_i32 s34, s29, s30
	s_add_i32 s35, s29, 1
	s_sub_i32 s34, s22, s34
	s_sub_i32 s39, s34, s30
	s_cmp_ge_u32 s34, s30
	s_cselect_b32 s29, s35, s29
	s_cselect_b32 s34, s39, s34
	s_add_i32 s35, s29, 1
	s_cmp_ge_u32 s34, s30
	s_cselect_b32 s34, s35, s29
	s_mov_b32 s35, s28
.LBB0_8:                                ;   in Loop: Header=BB0_4 Depth=1
	s_load_dwordx2 s[40:41], s[24:25], 0x0
	s_mul_i32 s21, s30, s21
	s_mul_hi_u32 s29, s30, s20
	s_mul_i32 s39, s31, s20
	s_mul_i32 s31, s34, s31
	s_mul_hi_u32 s42, s34, s30
	s_mul_i32 s43, s35, s30
	s_add_i32 s21, s29, s21
	s_add_i32 s29, s42, s31
	s_mul_i32 s44, s34, s30
	s_add_i32 s21, s21, s39
	s_add_i32 s29, s29, s43
	s_sub_u32 s22, s22, s44
	s_subb_u32 s23, s23, s29
	s_mul_i32 s20, s30, s20
	s_waitcnt lgkmcnt(0)
	s_mul_i32 s23, s40, s23
	s_mul_hi_u32 s29, s40, s22
	s_add_i32 s23, s29, s23
	s_mul_i32 s29, s41, s22
	s_mul_i32 s22, s40, s22
	s_add_i32 s23, s23, s29
	s_add_u32 s38, s22, s38
	s_addc_u32 s37, s23, s37
	s_add_u32 s26, s26, 1
	s_addc_u32 s27, s27, 0
	s_add_u32 s24, s24, 8
	v_cmp_ge_u64_e64 s22, s[26:27], s[10:11]
	s_addc_u32 s25, s25, 0
	s_add_u32 s12, s12, 8
	s_addc_u32 s13, s13, 0
	s_and_b32 vcc_lo, exec_lo, s22
	s_cbranch_vccnz .LBB0_10
; %bb.9:                                ;   in Loop: Header=BB0_4 Depth=1
	s_mov_b64 s[22:23], s[34:35]
	s_branch .LBB0_4
.LBB0_10:
	v_cmp_lt_u64_e64 s7, s[6:7], s[20:21]
	s_mov_b64 s[22:23], 0
	s_and_b32 vcc_lo, exec_lo, s7
	s_cbranch_vccnz .LBB0_12
; %bb.11:
	v_cvt_f32_u32_e32 v0, s20
	s_sub_i32 s12, 0, s20
	v_rcp_iflag_f32_e32 v0, v0
	v_mul_f32_e32 v0, 0x4f7ffffe, v0
	v_cvt_u32_f32_e32 v0, v0
	v_readfirstlane_b32 s7, v0
	s_mul_i32 s12, s12, s7
	s_mul_hi_u32 s12, s7, s12
	s_add_i32 s7, s7, s12
	s_mul_hi_u32 s7, s6, s7
	s_mul_i32 s12, s7, s20
	s_sub_i32 s6, s6, s12
	s_add_i32 s12, s7, 1
	s_sub_i32 s13, s6, s20
	s_cmp_ge_u32 s6, s20
	s_cselect_b32 s7, s12, s7
	s_cselect_b32 s6, s13, s6
	s_add_i32 s12, s7, 1
	s_cmp_ge_u32 s6, s20
	s_cselect_b32 s22, s12, s7
.LBB0_12:
	s_lshl_b64 s[6:7], s[10:11], 3
	v_mul_u32_u24_e32 v0, 0x2493, v106
	s_add_u32 s6, s14, s6
	s_addc_u32 s7, s15, s7
	s_mov_b32 s44, 0x5d8e7cdc
	s_load_dwordx2 s[6:7], s[6:7], 0x0
	v_lshrrev_b32_e32 v0, 16, v0
	s_mov_b32 s40, 0x2a9d6da3
	s_mov_b32 s30, 0xeb564b22
	s_mov_b32 s24, 0x923c349f
	s_mov_b32 s12, 0x4363dd80
	v_mul_lo_u16 v1, v0, 7
	v_add_nc_u32_e32 v2, 17, v0
	v_mul_lo_u32 v3, s0, v0
	v_add_nc_u32_e32 v9, 34, v0
	v_add_nc_u32_e32 v13, 51, v0
	v_sub_nc_u16 v1, v106, v1
	v_mul_lo_u32 v2, s0, v2
	v_add_nc_u32_e32 v17, 0x44, v0
	v_mul_lo_u32 v9, s0, v9
	v_mul_lo_u32 v13, s0, v13
	v_and_b32_e32 v107, 0xffff, v1
	v_add_nc_u32_e32 v21, 0x55, v0
	v_mul_lo_u32 v17, s0, v17
	v_add_nc_u32_e32 v23, 0x88, v0
	s_waitcnt lgkmcnt(0)
	s_mul_i32 s7, s7, s22
	s_mul_hi_u32 s10, s6, s22
	s_mul_i32 s6, s6, s22
	v_add_co_u32 v71, s11, s36, v107
	v_mad_u64_u32 v[250:251], null, s2, v107, 0
	s_add_i32 s2, s10, s7
	v_add_co_ci_u32_e64 v72, null, s33, 0, s11
	s_add_u32 s10, s6, s38
	s_addc_u32 s11, s2, s37
	s_add_u32 s6, s36, 7
	s_addc_u32 s7, s33, 0
	v_cmp_gt_u64_e32 vcc_lo, s[18:19], v[71:72]
	v_cmp_le_u64_e64 s2, s[6:7], s[18:19]
	v_add_lshl_u32 v1, v250, v3, 4
	v_add_lshl_u32 v2, v250, v2, 4
	s_mov_b32 s7, 0x31014000
	s_mov_b32 s6, -2
	v_add_lshl_u32 v9, v250, v9, 4
	s_or_b32 vcc_lo, s2, vcc_lo
	s_lshl_b32 s2, s10, 4
	v_cndmask_b32_e32 v1, -1, v1, vcc_lo
	v_cndmask_b32_e32 v5, -1, v2, vcc_lo
	s_clause 0x1
	buffer_load_dwordx4 v[1:4], v1, s[4:7], s2 offen
	buffer_load_dwordx4 v[5:8], v5, s[4:7], s2 offen
	v_cndmask_b32_e32 v9, -1, v9, vcc_lo
	v_add_lshl_u32 v13, v250, v13, 4
	v_add_lshl_u32 v17, v250, v17, 4
	v_mul_lo_u32 v25, s0, v21
	v_add_nc_u32_e32 v21, 0x66, v0
	buffer_load_dwordx4 v[9:12], v9, s[4:7], s2 offen
	v_cndmask_b32_e32 v13, -1, v13, vcc_lo
	v_cndmask_b32_e32 v17, -1, v17, vcc_lo
	v_add_nc_u32_e32 v24, 0x99, v0
	v_mul_lo_u32 v21, s0, v21
	v_mul_lo_u32 v23, s0, v23
	s_clause 0x1
	buffer_load_dwordx4 v[13:16], v13, s[4:7], s2 offen
	buffer_load_dwordx4 v[17:20], v17, s[4:7], s2 offen
	v_add_lshl_u32 v25, v250, v25, 4
	v_mul_lo_u32 v24, s0, v24
	v_add_nc_u32_e32 v22, 0x77, v0
	v_add_nc_u32_e32 v26, 0xaa, v0
	v_add_lshl_u32 v21, v250, v21, 4
	v_cndmask_b32_e32 v25, -1, v25, vcc_lo
	v_add_lshl_u32 v23, v250, v23, 4
	v_mul_lo_u32 v22, s0, v22
	v_add_nc_u32_e32 v27, 0xbb, v0
	v_add_lshl_u32 v24, v250, v24, 4
	buffer_load_dwordx4 v[57:60], v25, s[4:7], s2 offen
	v_cndmask_b32_e32 v21, -1, v21, vcc_lo
	v_cndmask_b32_e32 v23, -1, v23, vcc_lo
	v_mul_lo_u32 v25, s0, v26
	v_cndmask_b32_e32 v24, -1, v24, vcc_lo
	s_clause 0x2
	buffer_load_dwordx4 v[65:68], v21, s[4:7], s2 offen
	buffer_load_dwordx4 v[53:56], v23, s[4:7], s2 offen
	;; [unrolled: 1-line block ×3, first 2 shown]
	v_add_lshl_u32 v22, v250, v22, 4
	v_add_nc_u32_e32 v28, 0xcc, v0
	v_add_nc_u32_e32 v29, 0xdd, v0
	v_add_lshl_u32 v25, v250, v25, 4
	v_add_nc_u32_e32 v30, 0xee, v0
	v_cndmask_b32_e32 v22, -1, v22, vcc_lo
	v_add_nc_u32_e32 v32, 0x110, v0
	v_mul_lo_u32 v26, s0, v27
	v_cndmask_b32_e32 v25, -1, v25, vcc_lo
	s_clause 0x1
	buffer_load_dwordx4 v[61:64], v22, s[4:7], s2 offen
	buffer_load_dwordx4 v[45:48], v25, s[4:7], s2 offen
	v_mul_lo_u32 v27, s0, v28
	v_mul_lo_u32 v28, s0, v29
	;; [unrolled: 1-line block ×4, first 2 shown]
	v_add_lshl_u32 v26, v250, v26, 4
	v_add_nc_u32_e32 v31, 0xff, v0
	s_mov_b32 s38, 0x7c9e640b
	s_mov_b32 s18, 0x6c9a05f6
	v_add_lshl_u32 v27, v250, v27, 4
	v_cndmask_b32_e32 v23, -1, v26, vcc_lo
	v_add_lshl_u32 v22, v250, v28, 4
	v_add_lshl_u32 v21, v250, v30, 4
	v_mul_lo_u32 v26, s0, v31
	v_cndmask_b32_e32 v25, -1, v27, vcc_lo
	buffer_load_dwordx4 v[41:44], v23, s[4:7], s2 offen
	v_cndmask_b32_e32 v27, -1, v22, vcc_lo
	v_cndmask_b32_e32 v21, -1, v21, vcc_lo
	s_clause 0x1
	buffer_load_dwordx4 v[21:24], v21, s[4:7], s2 offen
	buffer_load_dwordx4 v[37:40], v25, s[4:7], s2 offen
	v_add_lshl_u32 v25, v250, v29, 4
	v_add_lshl_u32 v26, v250, v26, 4
	buffer_load_dwordx4 v[33:36], v27, s[4:7], s2 offen
	s_mov_b32 s45, 0xbfd71e95
	s_mov_b32 s41, 0xbfe58eea
	v_cndmask_b32_e32 v25, -1, v25, vcc_lo
	v_cndmask_b32_e32 v26, -1, v26, vcc_lo
	s_clause 0x1
	buffer_load_dwordx4 v[29:32], v25, s[4:7], s2 offen
	buffer_load_dwordx4 v[25:28], v26, s[4:7], s2 offen
	s_mov_b32 s6, 0xacd6c6b4
	s_mov_b32 s39, 0xbfeca52d
	;; [unrolled: 1-line block ×39, first 2 shown]
	s_waitcnt vmcnt(15)
	v_add_f64 v[72:73], v[3:4], v[7:8]
	v_add_f64 v[69:70], v[1:2], v[5:6]
	s_waitcnt vmcnt(14)
	v_add_f64 v[72:73], v[72:73], v[11:12]
	v_add_f64 v[69:70], v[69:70], v[9:10]
	s_waitcnt vmcnt(8)
	v_add_f64 v[80:81], v[53:54], -v[49:50]
	v_add_f64 v[82:83], v[55:56], -v[51:52]
	v_add_f64 v[74:75], v[53:54], v[49:50]
	s_waitcnt vmcnt(6)
	v_add_f64 v[78:79], v[63:64], v[47:48]
	v_add_f64 v[72:73], v[72:73], v[15:16]
	v_add_f64 v[69:70], v[69:70], v[13:14]
	v_add_f64 v[90:91], v[63:64], -v[47:48]
	v_add_f64 v[76:77], v[61:62], v[45:46]
	v_add_f64 v[88:89], v[61:62], -v[45:46]
	s_waitcnt vmcnt(5)
	v_add_f64 v[86:87], v[67:68], v[43:44]
	v_add_f64 v[94:95], v[67:68], -v[43:44]
	v_add_f64 v[84:85], v[65:66], v[41:42]
	v_add_f64 v[92:93], v[65:66], -v[41:42]
	s_waitcnt vmcnt(4)
	v_add_f64 v[104:105], v[7:8], -v[23:24]
	v_add_f64 v[126:127], v[7:8], v[23:24]
	v_add_f64 v[72:73], v[72:73], v[19:20]
	;; [unrolled: 1-line block ×4, first 2 shown]
	s_waitcnt vmcnt(3)
	v_add_f64 v[96:97], v[57:58], -v[37:38]
	v_add_f64 v[98:99], v[59:60], -v[39:40]
	s_waitcnt vmcnt(2)
	v_add_f64 v[100:101], v[17:18], -v[33:34]
	s_waitcnt vmcnt(0)
	v_add_f64 v[120:121], v[11:12], -v[27:28]
	v_add_f64 v[122:123], v[9:10], -v[25:26]
	v_add_f64 v[116:117], v[9:10], v[25:26]
	v_add_f64 v[118:119], v[11:12], v[27:28]
	v_mul_f64 v[11:12], v[82:83], s[46:47]
	v_mul_f64 v[9:10], v[88:89], s[48:49]
	;; [unrolled: 1-line block ×4, first 2 shown]
	v_add_f64 v[72:73], v[72:73], v[59:60]
	v_add_f64 v[69:70], v[69:70], v[57:58]
	v_mul_f64 v[132:133], v[104:105], s[38:39]
	v_mul_f64 v[134:135], v[104:105], s[30:31]
	v_mul_f64 v[136:137], v[104:105], s[24:25]
	v_mul_f64 v[138:139], v[104:105], s[18:19]
	v_mul_f64 v[140:141], v[104:105], s[12:13]
	v_mul_f64 v[142:143], v[104:105], s[6:7]
	v_mul_f64 v[170:171], v[100:101], s[30:31]
	v_mul_f64 v[186:187], v[100:101], s[6:7]
	v_mul_f64 v[160:161], v[120:121], s[40:41]
	v_mul_f64 v[162:163], v[122:123], s[40:41]
	v_mul_f64 v[176:177], v[120:121], s[30:31]
	v_mul_f64 v[188:189], v[120:121], s[18:19]
	v_mul_f64 v[190:191], v[122:123], s[18:19]
	v_mul_f64 v[196:197], v[122:123], s[6:7]
	v_mul_f64 v[198:199], v[120:121], s[52:53]
	v_mul_f64 v[200:201], v[122:123], s[52:53]
	v_mul_f64 v[202:203], v[120:121], s[50:51]
	v_mul_f64 v[204:205], v[122:123], s[50:51]
	v_fma_f64 v[210:211], v[124:125], s[14:15], -v[128:129]
	v_fma_f64 v[128:129], v[124:125], s[14:15], v[128:129]
	v_add_f64 v[102:103], v[72:73], v[67:68]
	v_add_f64 v[69:70], v[69:70], v[65:66]
	;; [unrolled: 1-line block ×7, first 2 shown]
	v_add_f64 v[13:14], v[13:14], -v[29:30]
	v_fma_f64 v[212:213], v[124:125], s[42:43], -v[130:131]
	v_fma_f64 v[130:131], v[124:125], s[42:43], v[130:131]
	v_fma_f64 v[214:215], v[124:125], s[26:27], -v[132:133]
	v_fma_f64 v[132:133], v[124:125], s[26:27], v[132:133]
	;; [unrolled: 2-line block ×3, first 2 shown]
	v_fma_f64 v[218:219], v[124:125], s[36:37], -v[136:137]
	v_fma_f64 v[220:221], v[124:125], s[20:21], -v[142:143]
	;; [unrolled: 1-line block ×3, first 2 shown]
	v_fma_f64 v[176:177], v[116:117], s[34:35], v[176:177]
	v_fma_f64 v[238:239], v[116:117], s[28:29], -v[188:189]
	v_fma_f64 v[240:241], v[118:119], s[28:29], v[190:191]
	v_fma_f64 v[244:245], v[118:119], s[20:21], v[196:197]
	v_fma_f64 v[196:197], v[118:119], s[20:21], -v[196:197]
	v_add_f64 v[63:64], v[102:103], v[63:64]
	v_add_f64 v[69:70], v[69:70], v[61:62]
	v_add_f64 v[102:103], v[5:6], -v[21:22]
	v_add_f64 v[61:62], v[19:20], -v[35:36]
	v_add_f64 v[19:20], v[15:16], v[31:32]
	v_add_f64 v[15:16], v[15:16], -v[31:32]
	v_fma_f64 v[246:247], v[116:117], s[22:23], -v[198:199]
	v_mul_f64 v[166:167], v[13:14], s[38:39]
	v_add_f64 v[210:211], v[1:2], v[210:211]
	v_add_f64 v[128:129], v[1:2], v[128:129]
	;; [unrolled: 1-line block ×4, first 2 shown]
	v_mul_f64 v[178:179], v[122:123], s[30:31]
	v_add_f64 v[134:135], v[1:2], v[134:135]
	v_mul_f64 v[194:195], v[13:14], s[54:55]
	v_fma_f64 v[188:189], v[116:117], s[28:29], v[188:189]
	v_fma_f64 v[190:191], v[118:119], s[28:29], -v[190:191]
	v_add_f64 v[132:133], v[1:2], v[132:133]
	v_add_f64 v[216:217], v[1:2], v[216:217]
	;; [unrolled: 1-line block ×3, first 2 shown]
	v_mul_f64 v[182:183], v[13:14], s[18:19]
	v_add_f64 v[212:213], v[1:2], v[212:213]
	v_add_f64 v[7:8], v[63:64], v[55:56]
	;; [unrolled: 1-line block ×3, first 2 shown]
	v_mul_f64 v[144:145], v[102:103], s[44:45]
	v_mul_f64 v[148:149], v[102:103], s[38:39]
	;; [unrolled: 1-line block ×11, first 2 shown]
	v_add_f64 v[130:131], v[176:177], v[130:131]
	v_add_f64 v[214:215], v[238:239], v[214:215]
	v_mul_f64 v[238:239], v[15:16], s[50:51]
	v_mul_f64 v[168:169], v[61:62], s[30:31]
	;; [unrolled: 1-line block ×3, first 2 shown]
	v_fma_f64 v[236:237], v[118:119], s[34:35], v[178:179]
	v_fma_f64 v[178:179], v[118:119], s[34:35], -v[178:179]
	v_add_f64 v[220:221], v[1:2], v[220:221]
	v_add_f64 v[132:133], v[188:189], v[132:133]
	;; [unrolled: 1-line block ×5, first 2 shown]
	v_fma_f64 v[224:225], v[126:127], s[26:27], v[148:149]
	v_fma_f64 v[226:227], v[126:127], s[34:35], v[150:151]
	v_fma_f64 v[150:151], v[126:127], s[34:35], -v[150:151]
	v_fma_f64 v[228:229], v[126:127], s[36:37], v[152:153]
	v_fma_f64 v[152:153], v[126:127], s[36:37], -v[152:153]
	;; [unrolled: 2-line block ×3, first 2 shown]
	v_fma_f64 v[148:149], v[126:127], s[26:27], -v[148:149]
	v_fma_f64 v[230:231], v[126:127], s[28:29], v[154:155]
	v_fma_f64 v[154:155], v[126:127], s[28:29], -v[154:155]
	v_fma_f64 v[232:233], v[126:127], s[22:23], v[156:157]
	v_mul_f64 v[206:207], v[120:121], s[48:49]
	v_mul_f64 v[208:209], v[122:123], s[48:49]
	;; [unrolled: 1-line block ×7, first 2 shown]
	v_add_f64 v[212:213], v[234:235], v[212:213]
	v_add_f64 v[47:48], v[174:175], v[47:48]
	v_add_f64 v[45:46], v[172:173], v[45:46]
	v_mul_f64 v[174:175], v[120:121], s[6:7]
	v_add_f64 v[224:225], v[3:4], v[224:225]
	v_add_f64 v[226:227], v[3:4], v[226:227]
	;; [unrolled: 1-line block ×11, first 2 shown]
	v_mul_f64 v[172:173], v[61:62], s[50:51]
	v_mul_f64 v[120:121], v[120:121], s[46:47]
	;; [unrolled: 1-line block ×5, first 2 shown]
	v_add_f64 v[72:73], v[55:56], v[51:52]
	v_mul_f64 v[63:64], v[92:93], s[18:19]
	v_mul_f64 v[51:52], v[80:81], s[6:7]
	v_add_f64 v[43:44], v[47:48], v[43:44]
	v_add_f64 v[41:42], v[45:46], v[41:42]
	v_fma_f64 v[45:46], v[124:125], s[36:37], v[136:137]
	v_fma_f64 v[47:48], v[124:125], s[28:29], -v[138:139]
	v_fma_f64 v[136:137], v[124:125], s[28:29], v[138:139]
	v_fma_f64 v[138:139], v[124:125], s[22:23], -v[140:141]
	v_fma_f64 v[140:141], v[124:125], s[22:23], v[140:141]
	v_fma_f64 v[124:125], v[124:125], s[20:21], v[142:143]
	;; [unrolled: 1-line block ×3, first 2 shown]
	v_fma_f64 v[144:145], v[126:127], s[14:15], -v[144:145]
	v_fma_f64 v[242:243], v[116:117], s[20:21], -v[174:175]
	v_fma_f64 v[174:175], v[116:117], s[20:21], v[174:175]
	v_add_f64 v[224:225], v[240:241], v[224:225]
	v_mul_f64 v[240:241], v[13:14], s[50:51]
	v_add_f64 v[150:151], v[196:197], v[150:151]
	v_fma_f64 v[196:197], v[19:20], s[26:27], v[166:167]
	v_fma_f64 v[166:167], v[19:20], s[26:27], -v[166:167]
	v_add_f64 v[148:149], v[190:191], v[148:149]
	v_add_f64 v[226:227], v[244:245], v[226:227]
	;; [unrolled: 1-line block ×3, first 2 shown]
	v_mul_f64 v[190:191], v[100:101], s[46:47]
	v_add_f64 v[222:223], v[236:237], v[222:223]
	v_add_f64 v[39:40], v[43:44], v[39:40]
	;; [unrolled: 1-line block ×3, first 2 shown]
	v_fma_f64 v[41:42], v[126:127], s[22:23], -v[156:157]
	v_fma_f64 v[43:44], v[126:127], s[20:21], v[158:159]
	v_fma_f64 v[126:127], v[126:127], s[20:21], -v[158:159]
	v_fma_f64 v[156:157], v[116:117], s[42:43], -v[160:161]
	v_fma_f64 v[158:159], v[118:119], s[42:43], v[162:163]
	v_fma_f64 v[160:161], v[116:117], s[42:43], v[160:161]
	v_fma_f64 v[162:163], v[118:119], s[42:43], -v[162:163]
	v_add_f64 v[142:143], v[3:4], v[142:143]
	v_add_f64 v[144:145], v[3:4], v[144:145]
	;; [unrolled: 1-line block ×5, first 2 shown]
	v_fma_f64 v[174:175], v[17:18], s[26:27], -v[164:165]
	v_fma_f64 v[164:165], v[17:18], s[26:27], v[164:165]
	v_add_f64 v[47:48], v[1:2], v[47:48]
	v_add_f64 v[138:139], v[1:2], v[138:139]
	;; [unrolled: 1-line block ×4, first 2 shown]
	v_fma_f64 v[1:2], v[118:119], s[36:37], v[204:205]
	v_add_f64 v[216:217], v[242:243], v[216:217]
	v_add_f64 v[35:36], v[39:40], v[35:36]
	v_fma_f64 v[39:40], v[116:117], s[22:23], v[198:199]
	v_fma_f64 v[198:199], v[118:119], s[22:23], -v[200:201]
	v_add_f64 v[33:34], v[37:38], v[33:34]
	v_fma_f64 v[37:38], v[118:119], s[22:23], v[200:201]
	v_fma_f64 v[200:201], v[116:117], s[36:37], -v[202:203]
	v_add_f64 v[41:42], v[3:4], v[41:42]
	v_add_f64 v[43:44], v[3:4], v[43:44]
	v_add_f64 v[126:127], v[3:4], v[126:127]
	v_fma_f64 v[3:4], v[116:117], s[36:37], v[202:203]
	v_fma_f64 v[202:203], v[118:119], s[36:37], -v[204:205]
	v_add_f64 v[156:157], v[156:157], v[210:211]
	v_add_f64 v[142:143], v[158:159], v[142:143]
	;; [unrolled: 1-line block ×4, first 2 shown]
	v_fma_f64 v[204:205], v[116:117], s[26:27], -v[206:207]
	v_mul_f64 v[210:211], v[98:99], s[56:57]
	v_mul_f64 v[242:243], v[98:99], s[38:39]
	;; [unrolled: 1-line block ×4, first 2 shown]
	v_add_f64 v[1:2], v[1:2], v[230:231]
	v_mul_f64 v[230:231], v[13:14], s[56:57]
	v_add_f64 v[31:32], v[35:36], v[31:32]
	v_add_f64 v[39:40], v[39:40], v[45:46]
	v_fma_f64 v[45:46], v[17:18], s[28:29], -v[180:181]
	v_add_f64 v[152:153], v[198:199], v[152:153]
	v_mul_f64 v[198:199], v[15:16], s[56:57]
	v_fma_f64 v[180:181], v[17:18], s[28:29], v[180:181]
	v_add_f64 v[47:48], v[200:201], v[47:48]
	v_fma_f64 v[200:201], v[19:20], s[28:29], v[182:183]
	v_fma_f64 v[182:183], v[19:20], s[28:29], -v[182:183]
	v_add_f64 v[136:137], v[3:4], v[136:137]
	v_fma_f64 v[3:4], v[17:18], s[20:21], -v[192:193]
	v_add_f64 v[154:155], v[202:203], v[154:155]
	v_mul_f64 v[202:203], v[15:16], s[44:45]
	v_add_f64 v[156:157], v[174:175], v[156:157]
	v_fma_f64 v[174:175], v[19:20], s[20:21], v[194:195]
	v_add_f64 v[142:143], v[196:197], v[142:143]
	v_mul_f64 v[196:197], v[13:14], s[44:45]
	v_fma_f64 v[192:193], v[17:18], s[20:21], v[192:193]
	v_fma_f64 v[194:195], v[19:20], s[20:21], -v[194:195]
	v_add_f64 v[128:129], v[164:165], v[128:129]
	v_fma_f64 v[164:165], v[17:18], s[36:37], -v[238:239]
	v_add_f64 v[144:145], v[166:167], v[144:145]
	v_fma_f64 v[166:167], v[19:20], s[36:37], v[240:241]
	v_fma_f64 v[238:239], v[17:18], s[36:37], v[238:239]
	v_fma_f64 v[240:241], v[19:20], s[36:37], -v[240:241]
	v_add_f64 v[29:30], v[33:34], v[29:30]
	v_fma_f64 v[33:34], v[118:119], s[26:27], v[208:209]
	v_add_f64 v[130:131], v[180:181], v[130:131]
	v_fma_f64 v[180:181], v[17:18], s[42:43], -v[198:199]
	v_fma_f64 v[198:199], v[17:18], s[42:43], v[198:199]
	v_fma_f64 v[35:36], v[116:117], s[14:15], -v[120:121]
	v_fma_f64 v[120:121], v[116:117], s[14:15], v[120:121]
	v_fma_f64 v[116:117], v[116:117], s[26:27], v[206:207]
	;; [unrolled: 1-line block ×3, first 2 shown]
	v_fma_f64 v[122:123], v[118:119], s[14:15], -v[122:123]
	v_fma_f64 v[118:119], v[118:119], s[26:27], -v[208:209]
	v_mul_f64 v[208:209], v[100:101], s[50:51]
	v_add_f64 v[37:38], v[37:38], v[228:229]
	v_add_f64 v[146:147], v[182:183], v[146:147]
	;; [unrolled: 1-line block ×3, first 2 shown]
	v_fma_f64 v[192:193], v[17:18], s[14:15], -v[202:203]
	v_add_f64 v[148:149], v[194:195], v[148:149]
	v_fma_f64 v[194:195], v[19:20], s[14:15], v[196:197]
	v_add_f64 v[164:165], v[164:165], v[216:217]
	v_fma_f64 v[216:217], v[57:58], s[34:35], -v[168:169]
	v_add_f64 v[166:167], v[166:167], v[226:227]
	v_fma_f64 v[226:227], v[59:60], s[34:35], v[170:171]
	v_add_f64 v[134:135], v[238:239], v[134:135]
	v_mul_f64 v[238:239], v[61:62], s[38:39]
	v_fma_f64 v[168:169], v[57:58], s[34:35], v[168:169]
	v_fma_f64 v[170:171], v[59:60], s[34:35], -v[170:171]
	v_add_f64 v[180:181], v[180:181], v[218:219]
	v_fma_f64 v[218:219], v[57:58], s[20:21], -v[184:185]
	v_fma_f64 v[184:185], v[57:58], s[20:21], v[184:185]
	v_fma_f64 v[182:183], v[19:20], s[42:43], v[230:231]
	v_fma_f64 v[230:231], v[19:20], s[42:43], -v[230:231]
	v_add_f64 v[150:151], v[240:241], v[150:151]
	v_mul_f64 v[240:241], v[100:101], s[38:39]
	v_add_f64 v[39:40], v[198:199], v[39:40]
	v_fma_f64 v[198:199], v[59:60], s[20:21], v[186:187]
	v_fma_f64 v[186:187], v[59:60], s[20:21], -v[186:187]
	v_add_f64 v[45:46], v[45:46], v[212:213]
	v_add_f64 v[47:48], v[192:193], v[47:48]
	v_fma_f64 v[192:193], v[57:58], s[36:37], -v[172:173]
	v_add_f64 v[1:2], v[194:195], v[1:2]
	v_mul_f64 v[194:195], v[61:62], s[12:13]
	v_fma_f64 v[172:173], v[57:58], s[36:37], v[172:173]
	v_add_f64 v[3:4], v[3:4], v[214:215]
	v_add_f64 v[156:157], v[216:217], v[156:157]
	v_fma_f64 v[216:217], v[59:60], s[36:37], v[208:209]
	v_add_f64 v[142:143], v[226:227], v[142:143]
	v_add_f64 v[128:129], v[168:169], v[128:129]
	v_fma_f64 v[168:169], v[57:58], s[14:15], -v[188:189]
	v_add_f64 v[144:145], v[170:171], v[144:145]
	v_fma_f64 v[170:171], v[59:60], s[14:15], v[190:191]
	v_add_f64 v[130:131], v[184:185], v[130:131]
	v_fma_f64 v[184:185], v[57:58], s[26:27], -v[238:239]
	v_add_f64 v[37:38], v[182:183], v[37:38]
	v_mul_f64 v[182:183], v[98:99], s[6:7]
	v_add_f64 v[152:153], v[230:231], v[152:153]
	v_mul_f64 v[226:227], v[100:101], s[12:13]
	v_fma_f64 v[208:209], v[59:60], s[36:37], -v[208:209]
	v_fma_f64 v[188:189], v[57:58], s[14:15], v[188:189]
	v_add_f64 v[146:147], v[186:187], v[146:147]
	v_fma_f64 v[186:187], v[59:60], s[26:27], v[240:241]
	v_fma_f64 v[238:239], v[57:58], s[26:27], v[238:239]
	v_fma_f64 v[240:241], v[59:60], s[26:27], -v[240:241]
	v_add_f64 v[200:201], v[200:201], v[222:223]
	v_add_f64 v[132:133], v[172:173], v[132:133]
	v_fma_f64 v[172:173], v[57:58], s[22:23], -v[194:195]
	v_add_f64 v[174:175], v[174:175], v[224:225]
	v_mul_f64 v[230:231], v[96:97], s[6:7]
	v_add_f64 v[45:46], v[218:219], v[45:46]
	v_fma_f64 v[190:191], v[59:60], s[14:15], -v[190:191]
	v_add_f64 v[164:165], v[168:169], v[164:165]
	v_fma_f64 v[168:169], v[65:66], s[36:37], -v[108:109]
	v_add_f64 v[166:167], v[170:171], v[166:167]
	v_fma_f64 v[170:171], v[67:68], s[36:37], v[110:111]
	v_fma_f64 v[108:109], v[65:66], s[36:37], v[108:109]
	v_fma_f64 v[110:111], v[67:68], s[36:37], -v[110:111]
	v_add_f64 v[180:181], v[184:185], v[180:181]
	v_fma_f64 v[184:185], v[65:66], s[22:23], -v[112:113]
	v_fma_f64 v[112:113], v[65:66], s[22:23], v[112:113]
	v_add_f64 v[3:4], v[192:193], v[3:4]
	v_add_f64 v[148:149], v[208:209], v[148:149]
	v_fma_f64 v[208:209], v[59:60], s[22:23], v[226:227]
	v_add_f64 v[134:135], v[188:189], v[134:135]
	v_add_f64 v[39:40], v[238:239], v[39:40]
	v_add_f64 v[152:153], v[240:241], v[152:153]
	v_mul_f64 v[240:241], v[96:97], s[60:61]
	v_mul_f64 v[102:103], v[92:93], s[50:51]
	v_add_f64 v[47:48], v[172:173], v[47:48]
	v_fma_f64 v[172:173], v[65:66], s[42:43], -v[210:211]
	v_mul_f64 v[160:161], v[94:95], s[44:45]
	v_mul_f64 v[162:163], v[92:93], s[44:45]
	;; [unrolled: 1-line block ×3, first 2 shown]
	v_add_f64 v[198:199], v[198:199], v[200:201]
	v_add_f64 v[174:175], v[216:217], v[174:175]
	;; [unrolled: 1-line block ×5, first 2 shown]
	v_fma_f64 v[128:129], v[65:66], s[26:27], -v[242:243]
	v_add_f64 v[110:111], v[110:111], v[144:145]
	v_fma_f64 v[144:145], v[67:68], s[26:27], v[244:245]
	v_fma_f64 v[242:243], v[65:66], s[26:27], v[242:243]
	v_add_f64 v[112:113], v[112:113], v[130:131]
	v_fma_f64 v[130:131], v[65:66], s[20:21], -v[182:183]
	v_fma_f64 v[182:183], v[65:66], s[20:21], v[182:183]
	v_fma_f64 v[186:187], v[67:68], s[22:23], v[114:115]
	v_mul_f64 v[238:239], v[98:99], s[60:61]
	v_fma_f64 v[114:115], v[67:68], s[22:23], -v[114:115]
	v_add_f64 v[1:2], v[208:209], v[1:2]
	v_fma_f64 v[208:209], v[67:68], s[42:43], v[158:159]
	v_add_f64 v[156:157], v[168:169], v[156:157]
	v_fma_f64 v[210:211], v[65:66], s[42:43], v[210:211]
	v_add_f64 v[45:46], v[184:185], v[45:46]
	v_fma_f64 v[244:245], v[67:68], s[26:27], -v[244:245]
	v_add_f64 v[3:4], v[172:173], v[3:4]
	v_fma_f64 v[172:173], v[67:68], s[20:21], v[230:231]
	v_fma_f64 v[230:231], v[67:68], s[20:21], -v[230:231]
	v_mul_f64 v[248:249], v[13:14], s[12:13]
	v_mul_f64 v[53:54], v[90:91], s[12:13]
	;; [unrolled: 1-line block ×3, first 2 shown]
	v_add_f64 v[128:129], v[128:129], v[164:165]
	v_fma_f64 v[164:165], v[67:68], s[34:35], v[240:241]
	v_add_f64 v[144:145], v[144:145], v[166:167]
	v_mul_f64 v[166:167], v[13:14], s[30:31]
	v_add_f64 v[13:14], v[242:243], v[134:135]
	v_fma_f64 v[134:135], v[84:85], s[28:29], -v[69:70]
	v_add_f64 v[39:40], v[182:183], v[39:40]
	v_fma_f64 v[182:183], v[84:85], s[36:37], -v[104:105]
	v_mul_f64 v[5:6], v[80:81], s[46:47]
	v_mul_f64 v[228:229], v[92:93], s[12:13]
	;; [unrolled: 1-line block ×5, first 2 shown]
	v_add_f64 v[142:143], v[170:171], v[142:143]
	v_fma_f64 v[158:159], v[67:68], s[42:43], -v[158:159]
	v_add_f64 v[186:187], v[186:187], v[198:199]
	v_add_f64 v[114:115], v[114:115], v[146:147]
	;; [unrolled: 1-line block ×4, first 2 shown]
	v_fma_f64 v[210:211], v[65:66], s[34:35], -v[238:239]
	v_add_f64 v[150:151], v[244:245], v[150:151]
	v_fma_f64 v[242:243], v[86:87], s[28:29], v[63:64]
	v_fma_f64 v[69:70], v[84:85], s[28:29], v[69:70]
	v_add_f64 v[152:153], v[230:231], v[152:153]
	v_fma_f64 v[230:231], v[86:87], s[36:37], v[102:103]
	v_fma_f64 v[104:105], v[84:85], s[36:37], v[104:105]
	v_add_f64 v[1:2], v[164:165], v[1:2]
	v_fma_f64 v[164:165], v[72:73], s[20:21], v[51:52]
	v_fma_f64 v[102:103], v[86:87], s[36:37], -v[102:103]
	v_fma_f64 v[244:245], v[72:73], s[20:21], -v[51:52]
	v_add_f64 v[51:52], v[134:135], v[156:157]
	v_fma_f64 v[134:135], v[84:85], s[14:15], -v[160:161]
	v_fma_f64 v[156:157], v[86:87], s[14:15], v[162:163]
	v_add_f64 v[45:46], v[182:183], v[45:46]
	v_fma_f64 v[182:183], v[84:85], s[22:23], -v[246:247]
	v_mul_f64 v[234:235], v[90:91], s[30:31]
	v_fma_f64 v[160:161], v[84:85], s[14:15], v[160:161]
	v_fma_f64 v[63:64], v[86:87], s[28:29], -v[63:64]
	v_mul_f64 v[55:56], v[88:89], s[12:13]
	v_mul_f64 v[49:50], v[82:83], s[6:7]
	v_mul_f64 v[236:237], v[88:89], s[30:31]
	v_mul_f64 v[212:213], v[90:91], s[58:59]
	v_mul_f64 v[222:223], v[88:89], s[58:59]
	v_mul_f64 v[192:193], v[90:91], s[44:45]
	v_mul_f64 v[216:217], v[88:89], s[44:45]
	v_mul_f64 v[170:171], v[92:93], s[40:41]
	v_add_f64 v[148:149], v[158:159], v[148:149]
	v_add_f64 v[130:131], v[130:131], v[180:181]
	v_fma_f64 v[180:181], v[76:77], s[22:23], -v[53:54]
	v_add_f64 v[37:38], v[172:173], v[37:38]
	v_add_f64 v[47:48], v[210:211], v[47:48]
	v_fma_f64 v[53:54], v[76:77], s[22:23], v[53:54]
	v_add_f64 v[142:143], v[242:243], v[142:143]
	v_add_f64 v[69:70], v[69:70], v[108:109]
	v_fma_f64 v[108:109], v[76:77], s[26:27], -v[7:8]
	v_fma_f64 v[162:163], v[86:87], s[14:15], -v[162:163]
	v_add_f64 v[186:187], v[230:231], v[186:187]
	v_fma_f64 v[230:231], v[86:87], s[22:23], v[228:229]
	v_add_f64 v[104:105], v[104:105], v[112:113]
	v_fma_f64 v[112:113], v[74:75], s[14:15], -v[11:12]
	v_fma_f64 v[242:243], v[84:85], s[22:23], v[246:247]
	v_add_f64 v[102:103], v[102:103], v[114:115]
	v_fma_f64 v[114:115], v[72:73], s[14:15], v[5:6]
	v_fma_f64 v[246:247], v[74:75], s[14:15], v[11:12]
	v_fma_f64 v[11:12], v[86:87], s[22:23], -v[228:229]
	v_add_f64 v[3:4], v[134:135], v[3:4]
	v_fma_f64 v[134:135], v[84:85], s[34:35], -v[218:219]
	v_add_f64 v[156:157], v[156:157], v[174:175]
	v_fma_f64 v[174:175], v[86:87], s[34:35], v[200:201]
	v_fma_f64 v[228:229], v[72:73], s[14:15], -v[5:6]
	v_fma_f64 v[5:6], v[84:85], s[34:35], v[218:219]
	v_fma_f64 v[200:201], v[86:87], s[34:35], -v[200:201]
	v_add_f64 v[128:129], v[182:183], v[128:129]
	v_fma_f64 v[182:183], v[84:85], s[42:43], -v[168:169]
	v_mul_f64 v[176:177], v[82:83], s[12:13]
	v_fma_f64 v[7:8], v[76:77], s[26:27], v[7:8]
	v_add_f64 v[132:133], v[160:161], v[132:133]
	v_fma_f64 v[160:161], v[76:77], s[34:35], -v[234:235]
	v_add_f64 v[63:64], v[63:64], v[110:111]
	v_fma_f64 v[110:111], v[78:79], s[26:27], v[9:10]
	v_mul_f64 v[158:159], v[15:16], s[30:31]
	v_fma_f64 v[172:173], v[78:79], s[22:23], v[55:56]
	v_fma_f64 v[210:211], v[74:75], s[20:21], -v[49:50]
	v_fma_f64 v[55:56], v[78:79], s[22:23], -v[55:56]
	v_fma_f64 v[49:50], v[74:75], s[20:21], v[49:50]
	v_fma_f64 v[9:10], v[78:79], s[26:27], -v[9:10]
	v_add_f64 v[148:149], v[162:163], v[148:149]
	v_fma_f64 v[162:163], v[78:79], s[34:35], v[236:237]
	v_add_f64 v[144:145], v[230:231], v[144:145]
	v_fma_f64 v[234:235], v[76:77], s[34:35], v[234:235]
	v_fma_f64 v[236:237], v[78:79], s[34:35], -v[236:237]
	v_add_f64 v[150:151], v[11:12], v[150:151]
	v_fma_f64 v[11:12], v[76:77], s[28:29], -v[212:213]
	v_add_f64 v[130:131], v[134:135], v[130:131]
	v_fma_f64 v[134:135], v[78:79], s[28:29], v[222:223]
	v_add_f64 v[37:38], v[174:175], v[37:38]
	v_add_f64 v[5:6], v[5:6], v[39:40]
	;; [unrolled: 1-line block ×3, first 2 shown]
	v_fma_f64 v[200:201], v[86:87], s[42:43], v[170:171]
	v_add_f64 v[47:48], v[182:183], v[47:48]
	v_fma_f64 v[182:183], v[76:77], s[14:15], -v[192:193]
	v_add_f64 v[51:52], v[180:181], v[51:52]
	v_fma_f64 v[180:181], v[78:79], s[14:15], v[216:217]
	v_add_f64 v[53:54], v[53:54], v[69:70]
	v_fma_f64 v[192:193], v[76:77], s[14:15], v[192:193]
	v_add_f64 v[45:46], v[108:109], v[45:46]
	v_add_f64 v[31:32], v[31:32], v[27:28]
	v_mul_f64 v[15:16], v[15:16], s[12:13]
	v_fma_f64 v[218:219], v[74:75], s[22:23], -v[176:177]
	v_add_f64 v[13:14], v[242:243], v[13:14]
	v_fma_f64 v[212:213], v[76:77], s[28:29], v[212:213]
	v_add_f64 v[7:8], v[7:8], v[104:105]
	v_add_f64 v[104:105], v[160:161], v[3:4]
	;; [unrolled: 1-line block ×20, first 2 shown]
	v_fma_f64 v[37:38], v[17:18], s[34:35], -v[158:159]
	v_fma_f64 v[45:46], v[19:20], s[34:35], v[166:167]
	v_mul_f64 v[49:50], v[61:62], s[58:59]
	v_mul_f64 v[51:52], v[100:101], s[58:59]
	v_add_f64 v[134:135], v[212:213], v[13:14]
	v_add_f64 v[13:14], v[246:247], v[7:8]
	;; [unrolled: 1-line block ×4, first 2 shown]
	v_fma_f64 v[7:8], v[17:18], s[14:15], v[202:203]
	v_fma_f64 v[29:30], v[19:20], s[14:15], -v[196:197]
	v_add_f64 v[35:36], v[35:36], v[220:221]
	v_add_f64 v[43:44], v[206:207], v[43:44]
	v_fma_f64 v[53:54], v[17:18], s[22:23], -v[15:16]
	v_fma_f64 v[104:105], v[19:20], s[22:23], v[248:249]
	v_mul_f64 v[61:62], v[61:62], s[56:57]
	v_mul_f64 v[100:101], v[100:101], s[56:57]
	v_add_f64 v[11:12], v[114:115], v[110:111]
	v_add_f64 v[110:111], v[120:121], v[124:125]
	v_add_f64 v[112:113], v[122:123], v[126:127]
	v_fma_f64 v[15:16], v[17:18], s[22:23], v[15:16]
	v_fma_f64 v[114:115], v[19:20], s[22:23], -v[248:249]
	v_add_f64 v[116:117], v[116:117], v[140:141]
	v_add_f64 v[41:42], v[118:119], v[41:42]
	v_fma_f64 v[17:18], v[17:18], s[34:35], v[158:159]
	v_fma_f64 v[19:20], v[19:20], s[34:35], -v[166:167]
	v_add_f64 v[31:32], v[37:38], v[31:32]
	v_add_f64 v[33:34], v[45:46], v[33:34]
	v_fma_f64 v[37:38], v[57:58], s[28:29], -v[49:50]
	v_fma_f64 v[45:46], v[59:60], s[28:29], v[51:52]
	v_mul_f64 v[122:123], v[98:99], s[44:45]
	v_mul_f64 v[124:125], v[96:97], s[44:45]
	v_add_f64 v[7:8], v[7:8], v[136:137]
	v_add_f64 v[29:30], v[29:30], v[154:155]
	v_fma_f64 v[118:119], v[57:58], s[22:23], v[194:195]
	v_fma_f64 v[120:121], v[59:60], s[22:23], -v[226:227]
	v_add_f64 v[35:36], v[53:54], v[35:36]
	v_add_f64 v[43:44], v[104:105], v[43:44]
	v_fma_f64 v[53:54], v[57:58], s[42:43], -v[61:62]
	v_fma_f64 v[104:105], v[59:60], s[42:43], v[100:101]
	v_mul_f64 v[98:99], v[98:99], s[18:19]
	v_mul_f64 v[96:97], v[96:97], s[18:19]
	v_add_f64 v[15:16], v[15:16], v[110:111]
	v_add_f64 v[110:111], v[114:115], v[112:113]
	v_fma_f64 v[61:62], v[57:58], s[42:43], v[61:62]
	v_fma_f64 v[100:101], v[59:60], s[42:43], -v[100:101]
	v_add_f64 v[17:18], v[17:18], v[116:117]
	v_add_f64 v[19:20], v[19:20], v[41:42]
	v_fma_f64 v[41:42], v[57:58], s[28:29], v[49:50]
	v_fma_f64 v[49:50], v[59:60], s[28:29], -v[51:52]
	v_add_f64 v[31:32], v[37:38], v[31:32]
	v_add_f64 v[33:34], v[45:46], v[33:34]
	v_fma_f64 v[37:38], v[65:66], s[14:15], -v[122:123]
	v_fma_f64 v[45:46], v[67:68], s[14:15], v[124:125]
	v_mul_f64 v[59:60], v[94:95], s[6:7]
	v_mul_f64 v[112:113], v[92:93], s[6:7]
	v_add_f64 v[7:8], v[118:119], v[7:8]
	v_add_f64 v[29:30], v[120:121], v[29:30]
	v_fma_f64 v[51:52], v[65:66], s[34:35], v[238:239]
	v_fma_f64 v[57:58], v[67:68], s[34:35], -v[240:241]
	v_add_f64 v[35:36], v[53:54], v[35:36]
	v_add_f64 v[43:44], v[104:105], v[43:44]
	v_fma_f64 v[53:54], v[65:66], s[28:29], -v[98:99]
	v_fma_f64 v[104:105], v[67:68], s[28:29], v[96:97]
	v_mul_f64 v[94:95], v[94:95], s[48:49]
	v_mul_f64 v[92:93], v[92:93], s[48:49]
	v_add_f64 v[15:16], v[61:62], v[15:16]
	v_add_f64 v[61:62], v[100:101], v[110:111]
	v_fma_f64 v[98:99], v[65:66], s[28:29], v[98:99]
	v_fma_f64 v[96:97], v[67:68], s[28:29], -v[96:97]
	v_add_f64 v[17:18], v[41:42], v[17:18]
	v_add_f64 v[19:20], v[49:50], v[19:20]
	v_fma_f64 v[41:42], v[65:66], s[14:15], v[122:123]
	v_fma_f64 v[49:50], v[67:68], s[14:15], -v[124:125]
	v_mul_f64 v[184:185], v[90:91], s[6:7]
	v_mul_f64 v[198:199], v[88:89], s[6:7]
	v_add_f64 v[31:32], v[37:38], v[31:32]
	v_add_f64 v[33:34], v[45:46], v[33:34]
	v_fma_f64 v[37:38], v[84:85], s[20:21], -v[59:60]
	v_fma_f64 v[45:46], v[86:87], s[20:21], v[112:113]
	v_mul_f64 v[65:66], v[90:91], s[56:57]
	v_mul_f64 v[67:68], v[88:89], s[56:57]
	v_add_f64 v[7:8], v[51:52], v[7:8]
	v_add_f64 v[29:30], v[57:58], v[29:30]
	v_fma_f64 v[51:52], v[84:85], s[42:43], v[168:169]
	v_fma_f64 v[57:58], v[86:87], s[42:43], -v[170:171]
	v_add_f64 v[35:36], v[53:54], v[35:36]
	v_add_f64 v[43:44], v[104:105], v[43:44]
	v_fma_f64 v[53:54], v[84:85], s[26:27], -v[94:95]
	v_fma_f64 v[100:101], v[86:87], s[26:27], v[92:93]
	v_mul_f64 v[90:91], v[90:91], s[24:25]
	v_mul_f64 v[88:89], v[88:89], s[24:25]
	v_add_f64 v[15:16], v[98:99], v[15:16]
	v_add_f64 v[61:62], v[96:97], v[61:62]
	v_fma_f64 v[94:95], v[84:85], s[26:27], v[94:95]
	v_fma_f64 v[92:93], v[86:87], s[26:27], -v[92:93]
	v_add_f64 v[17:18], v[41:42], v[17:18]
	v_add_f64 v[19:20], v[49:50], v[19:20]
	v_fma_f64 v[41:42], v[84:85], s[20:21], v[59:60]
	v_fma_f64 v[49:50], v[86:87], s[20:21], -v[112:113]
	v_mul_f64 v[178:179], v[80:81], s[12:13]
	v_mul_f64 v[214:215], v[82:83], s[56:57]
	;; [unrolled: 1-line block ×7, first 2 shown]
	v_fma_f64 v[108:109], v[76:77], s[20:21], -v[184:185]
	v_fma_f64 v[186:187], v[78:79], s[20:21], v[198:199]
	v_add_f64 v[31:32], v[37:38], v[31:32]
	v_add_f64 v[33:34], v[45:46], v[33:34]
	v_fma_f64 v[37:38], v[76:77], s[42:43], -v[65:66]
	v_fma_f64 v[45:46], v[78:79], s[42:43], v[67:68]
	v_mul_f64 v[59:60], v[82:83], s[24:25]
	v_mul_f64 v[84:85], v[80:81], s[24:25]
	v_add_f64 v[7:8], v[51:52], v[7:8]
	v_add_f64 v[29:30], v[57:58], v[29:30]
	v_fma_f64 v[51:52], v[76:77], s[20:21], v[184:185]
	v_fma_f64 v[57:58], v[78:79], s[20:21], -v[198:199]
	v_add_f64 v[35:36], v[53:54], v[35:36]
	v_add_f64 v[43:44], v[100:101], v[43:44]
	v_fma_f64 v[53:54], v[76:77], s[36:37], -v[90:91]
	v_fma_f64 v[86:87], v[78:79], s[36:37], v[88:89]
	v_mul_f64 v[82:83], v[82:83], s[60:61]
	v_mul_f64 v[80:81], v[80:81], s[60:61]
	v_add_f64 v[15:16], v[94:95], v[15:16]
	v_add_f64 v[61:62], v[92:93], v[61:62]
	v_fma_f64 v[90:91], v[76:77], s[36:37], v[90:91]
	v_fma_f64 v[88:89], v[78:79], s[36:37], -v[88:89]
	v_add_f64 v[17:18], v[41:42], v[17:18]
	v_add_f64 v[19:20], v[49:50], v[19:20]
	v_fma_f64 v[41:42], v[76:77], s[42:43], v[65:66]
	v_fma_f64 v[49:50], v[78:79], s[42:43], -v[67:68]
	v_fma_f64 v[216:217], v[78:79], s[14:15], -v[216:217]
	;; [unrolled: 1-line block ×3, first 2 shown]
	v_add_f64 v[142:143], v[172:173], v[142:143]
	v_fma_f64 v[230:231], v[72:73], s[22:23], v[178:179]
	v_fma_f64 v[174:175], v[74:75], s[42:43], -v[214:215]
	v_fma_f64 v[39:40], v[72:73], s[42:43], v[224:225]
	v_fma_f64 v[172:173], v[74:75], s[28:29], -v[188:189]
	v_fma_f64 v[69:70], v[72:73], s[28:29], v[190:191]
	v_add_f64 v[130:131], v[182:183], v[130:131]
	v_add_f64 v[47:48], v[108:109], v[47:48]
	;; [unrolled: 1-line block ×3, first 2 shown]
	v_fma_f64 v[67:68], v[74:75], s[26:27], -v[146:147]
	v_fma_f64 v[76:77], v[72:73], s[26:27], v[208:209]
	v_fma_f64 v[176:177], v[74:75], s[22:23], v[176:177]
	v_add_f64 v[92:93], v[37:38], v[31:32]
	v_add_f64 v[94:95], v[45:46], v[33:34]
	v_fma_f64 v[96:97], v[74:75], s[36:37], -v[59:60]
	v_fma_f64 v[98:99], v[72:73], s[36:37], v[84:85]
	v_add_f64 v[7:8], v[51:52], v[7:8]
	v_add_f64 v[51:52], v[57:58], v[29:30]
	v_fma_f64 v[57:58], v[74:75], s[26:27], v[146:147]
	v_add_f64 v[35:36], v[53:54], v[35:36]
	v_add_f64 v[86:87], v[86:87], v[43:44]
	v_fma_f64 v[100:101], v[74:75], s[34:35], -v[82:83]
	v_fma_f64 v[104:105], v[72:73], s[34:35], v[80:81]
	v_add_f64 v[15:16], v[90:91], v[15:16]
	v_add_f64 v[88:89], v[88:89], v[61:62]
	v_fma_f64 v[61:62], v[74:75], s[34:35], v[82:83]
	v_fma_f64 v[80:81], v[72:73], s[34:35], -v[80:81]
	v_fma_f64 v[214:215], v[74:75], s[42:43], v[214:215]
	v_fma_f64 v[188:189], v[74:75], s[28:29], v[188:189]
	v_add_f64 v[82:83], v[41:42], v[17:18]
	v_add_f64 v[19:20], v[49:50], v[19:20]
	v_fma_f64 v[74:75], v[74:75], s[36:37], v[59:60]
	v_fma_f64 v[84:85], v[72:73], s[36:37], -v[84:85]
	v_fma_f64 v[78:79], v[72:73], s[26:27], -v[208:209]
	;; [unrolled: 1-line block ×3, first 2 shown]
	v_add_f64 v[152:153], v[216:217], v[152:153]
	v_fma_f64 v[178:179], v[72:73], s[22:23], -v[178:179]
	v_add_f64 v[90:91], v[222:223], v[150:151]
	v_fma_f64 v[72:73], v[72:73], s[42:43], -v[224:225]
	v_add_f64 v[3:4], v[164:165], v[142:143]
	v_add_f64 v[27:28], v[230:231], v[156:157]
	;; [unrolled: 1-line block ×21, first 2 shown]
	v_mul_u32_u24_e32 v70, 0x770, v0
	v_lshlrev_b32_e32 v61, 4, v107
	v_add_f64 v[33:34], v[214:215], v[134:135]
	v_add_f64 v[35:36], v[72:73], v[90:91]
	v_add_f64 v[19:20], v[178:179], v[132:133]
	v_add_f64 v[15:16], v[228:229], v[102:103]
	v_add_f64 v[7:8], v[244:245], v[162:163]
	v_add3_u32 v70, 0, v70, v61
	ds_write_b128 v70, v[21:24]
	ds_write_b128 v70, v[1:4] offset:112
	ds_write_b128 v70, v[9:12] offset:224
	;; [unrolled: 1-line block ×16, first 2 shown]
	s_waitcnt lgkmcnt(0)
	s_barrier
	buffer_gl0_inv
	s_and_saveexec_b32 s2, vcc_lo
	s_cbranch_execz .LBB0_14
; %bb.13:
	v_mul_lo_u16 v1, v0, 31
	v_mov_b32_e32 v63, 4
	v_lshrrev_b16 v1, 9, v1
	v_mul_lo_u16 v1, v1, 17
	v_sub_nc_u16 v1, v0, v1
	v_mul_u32_u24_e32 v0, 0x70, v0
	v_and_b32_e32 v105, 0xff, v1
	v_add3_u32 v70, 0, v0, v61
	v_lshlrev_b32_e32 v62, 8, v105
	v_mul_lo_u32 v68, v71, v105
	s_clause 0xf
	global_load_dwordx4 v[1:4], v62, s[16:17] offset:112
	global_load_dwordx4 v[29:32], v62, s[16:17] offset:128
	;; [unrolled: 1-line block ×11, first 2 shown]
	global_load_dwordx4 v[41:44], v62, s[16:17]
	global_load_dwordx4 v[45:48], v62, s[16:17] offset:240
	global_load_dwordx4 v[49:52], v62, s[16:17] offset:16
	;; [unrolled: 1-line block ×4, first 2 shown]
	v_bfe_u32 v69, v68, 8, 8
	v_lshlrev_b32_sdwa v62, v63, v68 dst_sel:DWORD dst_unused:UNUSED_PAD src0_sel:DWORD src1_sel:BYTE_0
	v_lshl_or_b32 v68, v69, 4, 0x1000
	v_add_nc_u32_e32 v69, 0x110, v105
	s_clause 0x1
	global_load_dwordx4 v[72:75], v62, s[8:9]
	global_load_dwordx4 v[76:79], v68, s[8:9]
	v_mul_lo_u32 v62, v71, v69
	v_bfe_u32 v68, v62, 8, 8
	v_lshlrev_b32_sdwa v62, v63, v62 dst_sel:DWORD dst_unused:UNUSED_PAD src0_sel:DWORD src1_sel:BYTE_0
	v_lshl_or_b32 v68, v68, 4, 0x1000
	s_clause 0x1
	global_load_dwordx4 v[80:83], v62, s[8:9]
	global_load_dwordx4 v[84:87], v68, s[8:9]
	v_add_nc_u32_e32 v62, 0xff, v105
	v_mul_lo_u32 v62, v71, v62
	v_bfe_u32 v68, v62, 8, 8
	v_lshlrev_b32_sdwa v62, v63, v62 dst_sel:DWORD dst_unused:UNUSED_PAD src0_sel:DWORD src1_sel:BYTE_0
	v_lshl_or_b32 v68, v68, 4, 0x1000
	s_clause 0x1
	global_load_dwordx4 v[88:91], v62, s[8:9]
	global_load_dwordx4 v[92:95], v68, s[8:9]
	ds_read_b128 v[100:103], v70 offset:15232
	ds_read_b128 v[108:111], v70 offset:17136
	;; [unrolled: 1-line block ×4, first 2 shown]
	s_waitcnt vmcnt(21) lgkmcnt(3)
	v_mul_f64 v[61:62], v[100:101], v[3:4]
	v_mul_f64 v[3:4], v[102:103], v[3:4]
	s_waitcnt vmcnt(20) lgkmcnt(2)
	v_mul_f64 v[68:69], v[108:109], v[31:32]
	v_mul_f64 v[31:32], v[110:111], v[31:32]
	s_waitcnt vmcnt(19) lgkmcnt(1)
	v_mul_f64 v[96:97], v[114:115], v[27:28]
	v_fma_f64 v[98:99], v[102:103], v[1:2], v[61:62]
	v_mul_f64 v[61:62], v[112:113], v[27:28]
	v_fma_f64 v[120:121], v[100:101], v[1:2], -v[3:4]
	ds_read_b128 v[0:3], v70 offset:11424
	v_fma_f64 v[102:103], v[110:111], v[29:30], v[68:69]
	v_fma_f64 v[108:109], v[108:109], v[29:30], -v[31:32]
	s_waitcnt vmcnt(18) lgkmcnt(1)
	v_mul_f64 v[31:32], v[116:117], v[23:24]
	v_mul_f64 v[68:69], v[118:119], v[23:24]
	ds_read_b128 v[27:30], v70 offset:20944
	v_fma_f64 v[124:125], v[112:113], v[25:26], -v[96:97]
	v_fma_f64 v[122:123], v[114:115], v[25:26], v[61:62]
	ds_read_b128 v[23:26], v70 offset:9520
	s_waitcnt vmcnt(17) lgkmcnt(2)
	v_mul_f64 v[100:101], v[0:1], v[19:20]
	v_mul_f64 v[61:62], v[2:3], v[19:20]
	v_fma_f64 v[110:111], v[118:119], v[21:22], v[31:32]
	v_fma_f64 v[114:115], v[116:117], v[21:22], -v[68:69]
	ds_read_b128 v[19:22], v70 offset:22848
	s_waitcnt vmcnt(16) lgkmcnt(2)
	v_mul_f64 v[96:97], v[27:28], v[15:16]
	v_mul_f64 v[15:16], v[29:30], v[15:16]
	s_waitcnt vmcnt(15) lgkmcnt(1)
	v_mul_f64 v[31:32], v[25:26], v[11:12]
	v_fma_f64 v[126:127], v[2:3], v[17:18], v[100:101]
	v_fma_f64 v[128:129], v[0:1], v[17:18], -v[61:62]
	v_mul_f64 v[17:18], v[23:24], v[11:12]
	ds_read_b128 v[0:3], v70 offset:7616
	v_fma_f64 v[61:62], v[29:30], v[13:14], v[96:97]
	v_fma_f64 v[100:101], v[27:28], v[13:14], -v[15:16]
	s_waitcnt vmcnt(14) lgkmcnt(1)
	v_mul_f64 v[15:16], v[19:20], v[7:8]
	v_mul_f64 v[27:28], v[21:22], v[7:8]
	ds_read_b128 v[11:14], v70 offset:24752
	v_fma_f64 v[132:133], v[23:24], v[9:10], -v[31:32]
	v_fma_f64 v[130:131], v[25:26], v[9:10], v[17:18]
	ds_read_b128 v[7:10], v70 offset:5712
	s_waitcnt vmcnt(13) lgkmcnt(2)
	v_mul_f64 v[23:24], v[2:3], v[35:36]
	v_mul_f64 v[29:30], v[0:1], v[35:36]
	v_fma_f64 v[116:117], v[21:22], v[5:6], v[15:16]
	v_fma_f64 v[118:119], v[19:20], v[5:6], -v[27:28]
	s_waitcnt vmcnt(12) lgkmcnt(1)
	v_mul_f64 v[4:5], v[11:12], v[59:60]
	v_mul_f64 v[19:20], v[13:14], v[59:60]
	ds_read_b128 v[15:18], v70 offset:3808
	s_waitcnt vmcnt(2)
	v_mul_f64 v[26:27], v[80:81], v[86:87]
	v_add_nc_u32_e32 v28, 0xbb, v105
	v_mul_lo_u32 v28, v71, v28
	s_waitcnt lgkmcnt(1)
	v_mul_f64 v[21:22], v[7:8], v[39:40]
	v_fma_f64 v[138:139], v[0:1], v[33:34], -v[23:24]
	v_mul_f64 v[23:24], v[9:10], v[39:40]
	v_fma_f64 v[134:135], v[2:3], v[33:34], v[29:30]
	ds_read_b128 v[0:3], v70 offset:1904
	v_bfe_u32 v29, v28, 8, 8
	v_lshlrev_b32_sdwa v28, v63, v28 dst_sel:DWORD dst_unused:UNUSED_PAD src0_sel:DWORD src1_sel:BYTE_0
	v_fma_f64 v[59:60], v[13:14], v[57:58], v[4:5]
	v_fma_f64 v[57:58], v[11:12], v[57:58], -v[19:20]
	ds_read_b128 v[11:14], v70 offset:30464
	ds_read_b128 v[33:36], v70
	v_fma_f64 v[39:40], v[82:83], v[84:85], v[26:27]
	s_waitcnt vmcnt(0)
	v_mul_f64 v[26:27], v[88:89], v[94:95]
	v_lshl_or_b32 v29, v29, 4, 0x1000
	v_fma_f64 v[142:143], v[9:10], v[37:38], v[21:22]
	s_waitcnt lgkmcnt(3)
	v_mul_f64 v[21:22], v[15:16], v[51:52]
	s_waitcnt lgkmcnt(2)
	v_mul_f64 v[4:5], v[0:1], v[43:44]
	v_fma_f64 v[146:147], v[7:8], v[37:38], -v[23:24]
	v_mul_f64 v[6:7], v[2:3], v[43:44]
	v_mul_f64 v[23:24], v[17:18], v[51:52]
	s_waitcnt lgkmcnt(1)
	v_mul_f64 v[19:20], v[13:14], v[47:48]
	v_mul_f64 v[8:9], v[11:12], v[47:48]
	v_fma_f64 v[43:44], v[90:91], v[92:93], v[26:27]
	v_fma_f64 v[144:145], v[17:18], v[49:50], v[21:22]
	v_add_nc_u32_e32 v22, 0xcc, v105
	v_fma_f64 v[190:191], v[2:3], v[41:42], v[4:5]
	v_fma_f64 v[188:189], v[0:1], v[41:42], -v[6:7]
	ds_read_b128 v[0:3], v70 offset:28560
	ds_read_b128 v[4:7], v70 offset:26656
	v_fma_f64 v[136:137], v[11:12], v[45:46], -v[19:20]
	v_add_nc_u32_e32 v12, 0xee, v105
	v_fma_f64 v[68:69], v[13:14], v[45:46], v[8:9]
	v_fma_f64 v[152:153], v[15:16], v[49:50], -v[23:24]
	v_mul_f64 v[16:17], v[72:73], v[78:79]
	v_add_nc_u32_e32 v20, 0xdd, v105
	v_mul_lo_u32 v12, v71, v12
	v_mul_lo_u32 v20, v71, v20
	v_bfe_u32 v13, v12, 8, 8
	v_lshlrev_b32_sdwa v19, v63, v12 dst_sel:DWORD dst_unused:UNUSED_PAD src0_sel:DWORD src1_sel:BYTE_0
	s_waitcnt lgkmcnt(1)
	v_mul_f64 v[8:9], v[0:1], v[55:56]
	v_mul_f64 v[10:11], v[2:3], v[55:56]
	v_lshl_or_b32 v25, v13, 4, 0x1000
	s_waitcnt lgkmcnt(0)
	v_mul_f64 v[12:13], v[4:5], v[66:67]
	v_mul_f64 v[14:15], v[6:7], v[66:67]
	v_bfe_u32 v21, v20, 8, 8
	v_lshlrev_b32_sdwa v20, v63, v20 dst_sel:DWORD dst_unused:UNUSED_PAD src0_sel:DWORD src1_sel:BYTE_0
	v_lshl_or_b32 v21, v21, 4, 0x1000
	v_fma_f64 v[66:67], v[2:3], v[53:54], v[8:9]
	v_fma_f64 v[140:141], v[0:1], v[53:54], -v[10:11]
	s_clause 0x1
	global_load_dwordx4 v[0:3], v19, s[8:9]
	global_load_dwordx4 v[8:11], v25, s[8:9]
	v_mul_f64 v[18:19], v[74:75], v[78:79]
	v_fma_f64 v[78:79], v[6:7], v[64:65], v[12:13]
	v_fma_f64 v[64:65], v[4:5], v[64:65], -v[14:15]
	v_fma_f64 v[4:5], v[74:75], v[76:77], v[16:17]
	v_mul_f64 v[24:25], v[82:83], v[86:87]
	v_mul_lo_u32 v16, v71, v22
	buffer_store_dword v4, off, s[64:67], 0 offset:72 ; 4-byte Folded Spill
	buffer_store_dword v5, off, s[64:67], 0 offset:76 ; 4-byte Folded Spill
	v_fma_f64 v[4:5], v[72:73], v[76:77], -v[18:19]
	v_bfe_u32 v17, v16, 8, 8
	v_lshlrev_b32_sdwa v16, v63, v16 dst_sel:DWORD dst_unused:UNUSED_PAD src0_sel:DWORD src1_sel:BYTE_0
	v_fma_f64 v[37:38], v[80:81], v[84:85], -v[24:25]
	v_mul_f64 v[24:25], v[90:91], v[94:95]
	buffer_store_dword v4, off, s[64:67], 0 offset:64 ; 4-byte Folded Spill
	buffer_store_dword v5, off, s[64:67], 0 offset:68 ; 4-byte Folded Spill
	s_clause 0x1
	global_load_dwordx4 v[4:7], v20, s[8:9]
	global_load_dwordx4 v[12:15], v21, s[8:9]
	v_lshl_or_b32 v20, v17, 4, 0x1000
	s_clause 0x1
	global_load_dwordx4 v[16:19], v16, s[8:9]
	global_load_dwordx4 v[20:23], v20, s[8:9]
	v_fma_f64 v[41:42], v[88:89], v[92:93], -v[24:25]
	s_clause 0x1
	global_load_dwordx4 v[24:27], v28, s[8:9]
	global_load_dwordx4 v[28:31], v29, s[8:9]
	s_waitcnt vmcnt(6)
	v_mul_f64 v[45:46], v[2:3], v[10:11]
	v_mul_f64 v[10:11], v[0:1], v[10:11]
	v_fma_f64 v[45:46], v[0:1], v[8:9], -v[45:46]
	v_fma_f64 v[47:48], v[2:3], v[8:9], v[10:11]
	s_waitcnt vmcnt(4)
	v_mul_f64 v[0:1], v[6:7], v[14:15]
	v_mul_f64 v[2:3], v[4:5], v[14:15]
	v_add_nc_u32_e32 v14, 0xaa, v105
	s_waitcnt vmcnt(2)
	v_mul_f64 v[8:9], v[18:19], v[22:23]
	v_mul_f64 v[10:11], v[16:17], v[22:23]
	v_fma_f64 v[49:50], v[4:5], v[12:13], -v[0:1]
	v_mul_lo_u32 v0, v71, v14
	v_fma_f64 v[51:52], v[6:7], v[12:13], v[2:3]
	v_add_nc_u32_e32 v12, 0x99, v105
	v_fma_f64 v[112:113], v[16:17], v[20:21], -v[8:9]
	v_fma_f64 v[194:195], v[18:19], v[20:21], v[10:11]
	s_waitcnt vmcnt(0)
	v_mul_f64 v[8:9], v[26:27], v[30:31]
	v_mul_f64 v[10:11], v[24:25], v[30:31]
	v_bfe_u32 v1, v0, 8, 8
	v_lshlrev_b32_sdwa v0, v63, v0 dst_sel:DWORD dst_unused:UNUSED_PAD src0_sel:DWORD src1_sel:BYTE_0
	v_mul_lo_u32 v12, v71, v12
	v_lshl_or_b32 v4, v1, 4, 0x1000
	s_clause 0x1
	global_load_dwordx4 v[0:3], v0, s[8:9]
	global_load_dwordx4 v[4:7], v4, s[8:9]
	v_bfe_u32 v13, v12, 8, 8
	v_lshlrev_b32_sdwa v12, v63, v12 dst_sel:DWORD dst_unused:UNUSED_PAD src0_sel:DWORD src1_sel:BYTE_0
	v_lshl_or_b32 v13, v13, 4, 0x1000
	v_fma_f64 v[148:149], v[24:25], v[28:29], -v[8:9]
	v_fma_f64 v[150:151], v[26:27], v[28:29], v[10:11]
	s_clause 0x1
	global_load_dwordx4 v[8:11], v12, s[8:9]
	global_load_dwordx4 v[12:15], v13, s[8:9]
	s_waitcnt vmcnt(2)
	v_mul_f64 v[20:21], v[2:3], v[6:7]
	v_mul_f64 v[6:7], v[0:1], v[6:7]
	v_fma_f64 v[55:56], v[0:1], v[4:5], -v[20:21]
	v_fma_f64 v[53:54], v[2:3], v[4:5], v[6:7]
	s_waitcnt vmcnt(0)
	v_mul_f64 v[0:1], v[10:11], v[14:15]
	v_mul_f64 v[2:3], v[8:9], v[14:15]
	v_add_nc_u32_e32 v4, 0x88, v105
	v_mul_lo_u32 v4, v71, v4
	v_bfe_u32 v5, v4, 8, 8
	v_lshlrev_b32_sdwa v4, v63, v4 dst_sel:DWORD dst_unused:UNUSED_PAD src0_sel:DWORD src1_sel:BYTE_0
	v_lshl_or_b32 v5, v5, 4, 0x1000
	v_fma_f64 v[93:94], v[8:9], v[12:13], -v[0:1]
	v_fma_f64 v[95:96], v[10:11], v[12:13], v[2:3]
	s_clause 0x1
	global_load_dwordx4 v[0:3], v4, s[8:9]
	global_load_dwordx4 v[4:7], v5, s[8:9]
	s_waitcnt vmcnt(0)
	v_mul_f64 v[8:9], v[2:3], v[6:7]
	v_mul_f64 v[6:7], v[0:1], v[6:7]
	v_fma_f64 v[0:1], v[0:1], v[4:5], -v[8:9]
	buffer_store_dword v0, off, s[64:67], 0 offset:204 ; 4-byte Folded Spill
	buffer_store_dword v1, off, s[64:67], 0 offset:208 ; 4-byte Folded Spill
	v_fma_f64 v[0:1], v[2:3], v[4:5], v[6:7]
	buffer_store_dword v0, off, s[64:67], 0 offset:212 ; 4-byte Folded Spill
	buffer_store_dword v1, off, s[64:67], 0 offset:216 ; 4-byte Folded Spill
	v_add_nc_u32_e32 v0, 0x77, v105
	v_mul_lo_u32 v0, v71, v0
	v_bfe_u32 v1, v0, 8, 8
	v_lshlrev_b32_sdwa v0, v63, v0 dst_sel:DWORD dst_unused:UNUSED_PAD src0_sel:DWORD src1_sel:BYTE_0
	v_lshl_or_b32 v4, v1, 4, 0x1000
	s_clause 0x1
	global_load_dwordx4 v[0:3], v0, s[8:9]
	global_load_dwordx4 v[4:7], v4, s[8:9]
	s_waitcnt vmcnt(0)
	v_mul_f64 v[8:9], v[2:3], v[6:7]
	v_fma_f64 v[8:9], v[0:1], v[4:5], -v[8:9]
	v_mul_f64 v[0:1], v[0:1], v[6:7]
	buffer_store_dword v8, off, s[64:67], 0 offset:104 ; 4-byte Folded Spill
	buffer_store_dword v9, off, s[64:67], 0 offset:108 ; 4-byte Folded Spill
	v_fma_f64 v[0:1], v[2:3], v[4:5], v[0:1]
	buffer_store_dword v0, off, s[64:67], 0 offset:220 ; 4-byte Folded Spill
	buffer_store_dword v1, off, s[64:67], 0 offset:224 ; 4-byte Folded Spill
	v_add_nc_u32_e32 v0, 0x66, v105
	v_mul_lo_u32 v0, v71, v0
	v_bfe_u32 v1, v0, 8, 8
	v_lshlrev_b32_sdwa v0, v63, v0 dst_sel:DWORD dst_unused:UNUSED_PAD src0_sel:DWORD src1_sel:BYTE_0
	v_lshl_or_b32 v4, v1, 4, 0x1000
	s_clause 0x1
	global_load_dwordx4 v[0:3], v0, s[8:9]
	global_load_dwordx4 v[4:7], v4, s[8:9]
	s_waitcnt vmcnt(0)
	v_mul_f64 v[8:9], v[2:3], v[6:7]
	v_fma_f64 v[8:9], v[0:1], v[4:5], -v[8:9]
	v_mul_f64 v[0:1], v[0:1], v[6:7]
	;; [unrolled: 17-line block ×3, first 2 shown]
	buffer_store_dword v8, off, s[64:67], 0 offset:120 ; 4-byte Folded Spill
	buffer_store_dword v9, off, s[64:67], 0 offset:124 ; 4-byte Folded Spill
	v_fma_f64 v[0:1], v[2:3], v[4:5], v[0:1]
	buffer_store_dword v0, off, s[64:67], 0 offset:240 ; 4-byte Folded Spill
	buffer_store_dword v1, off, s[64:67], 0 offset:244 ; 4-byte Folded Spill
	v_add_nc_u32_e32 v0, 0x44, v105
	v_mul_lo_u32 v0, v71, v0
	v_bfe_u32 v1, v0, 8, 8
	v_lshlrev_b32_sdwa v0, v63, v0 dst_sel:DWORD dst_unused:UNUSED_PAD src0_sel:DWORD src1_sel:BYTE_0
	v_lshl_or_b32 v4, v1, 4, 0x1000
	s_clause 0x1
	global_load_dwordx4 v[0:3], v0, s[8:9]
	global_load_dwordx4 v[4:7], v4, s[8:9]
	s_waitcnt vmcnt(0)
	v_mul_f64 v[8:9], v[0:1], v[6:7]
	v_fma_f64 v[8:9], v[2:3], v[4:5], v[8:9]
	v_mul_f64 v[2:3], v[2:3], v[6:7]
	buffer_store_dword v8, off, s[64:67], 0 offset:176 ; 4-byte Folded Spill
	buffer_store_dword v9, off, s[64:67], 0 offset:180 ; 4-byte Folded Spill
	v_fma_f64 v[0:1], v[0:1], v[4:5], -v[2:3]
	buffer_store_dword v0, off, s[64:67], 0 offset:144 ; 4-byte Folded Spill
	buffer_store_dword v1, off, s[64:67], 0 offset:148 ; 4-byte Folded Spill
	v_add_nc_u32_e32 v0, 51, v105
	v_mul_lo_u32 v0, v71, v0
	v_bfe_u32 v1, v0, 8, 8
	v_lshlrev_b32_sdwa v0, v63, v0 dst_sel:DWORD dst_unused:UNUSED_PAD src0_sel:DWORD src1_sel:BYTE_0
	v_lshl_or_b32 v4, v1, 4, 0x1000
	s_clause 0x1
	global_load_dwordx4 v[0:3], v0, s[8:9]
	global_load_dwordx4 v[4:7], v4, s[8:9]
	s_waitcnt vmcnt(0)
	v_mul_f64 v[8:9], v[0:1], v[6:7]
	v_fma_f64 v[8:9], v[2:3], v[4:5], v[8:9]
	v_mul_f64 v[2:3], v[2:3], v[6:7]
	buffer_store_dword v8, off, s[64:67], 0 offset:184 ; 4-byte Folded Spill
	buffer_store_dword v9, off, s[64:67], 0 offset:188 ; 4-byte Folded Spill
	v_fma_f64 v[0:1], v[0:1], v[4:5], -v[2:3]
	;; [unrolled: 17-line block ×3, first 2 shown]
	buffer_store_dword v0, off, s[64:67], 0 offset:168 ; 4-byte Folded Spill
	buffer_store_dword v1, off, s[64:67], 0 offset:172 ; 4-byte Folded Spill
	v_add_nc_u32_e32 v0, 17, v105
	v_mul_lo_u32 v0, v71, v0
	v_lshlrev_b32_sdwa v1, v63, v0 dst_sel:DWORD dst_unused:UNUSED_PAD src0_sel:DWORD src1_sel:BYTE_0
	v_bfe_u32 v0, v0, 8, 8
	v_lshl_or_b32 v4, v0, 4, 0x1000
	s_clause 0x1
	global_load_dwordx4 v[0:3], v1, s[8:9]
	global_load_dwordx4 v[4:7], v4, s[8:9]
	s_waitcnt vmcnt(0)
	v_mul_f64 v[8:9], v[0:1], v[6:7]
	v_fma_f64 v[8:9], v[2:3], v[4:5], v[8:9]
	v_mul_f64 v[2:3], v[2:3], v[6:7]
	buffer_store_dword v8, off, s[64:67], 0 offset:152 ; 4-byte Folded Spill
	buffer_store_dword v9, off, s[64:67], 0 offset:156 ; 4-byte Folded Spill
	v_fma_f64 v[0:1], v[0:1], v[4:5], -v[2:3]
	buffer_store_dword v0, off, s[64:67], 0 offset:80 ; 4-byte Folded Spill
	buffer_store_dword v1, off, s[64:67], 0 offset:84 ; 4-byte Folded Spill
	v_mov_b32_e32 v0, v68
	v_mov_b32_e32 v6, v136
	;; [unrolled: 1-line block ×6, first 2 shown]
	buffer_store_dword v0, off, s[64:67], 0 offset:248 ; 4-byte Folded Spill
	buffer_store_dword v1, off, s[64:67], 0 offset:252 ; 4-byte Folded Spill
	;; [unrolled: 1-line block ×10, first 2 shown]
	v_mov_b32_e32 v67, v250
	v_mov_b32_e32 v68, v251
	buffer_store_dword v140, off, s[64:67], 0 offset:272 ; 4-byte Folded Spill
	buffer_store_dword v141, off, s[64:67], 0 offset:276 ; 4-byte Folded Spill
	;; [unrolled: 1-line block ×4, first 2 shown]
	v_add_f64 v[28:29], v[190:191], v[0:1]
	v_add_f64 v[250:251], v[190:191], -v[0:1]
	v_add_f64 v[252:253], v[188:189], -v[6:7]
	v_add_f64 v[106:107], v[144:145], v[8:9]
	v_add_f64 v[254:255], v[144:145], -v[8:9]
	v_add_f64 v[69:70], v[188:189], v[6:7]
	v_add_f64 v[144:145], v[152:153], v[140:141]
	v_add_f64 v[136:137], v[152:153], -v[140:141]
	v_add_f64 v[188:189], v[33:34], v[188:189]
	v_add_f64 v[190:191], v[35:36], v[190:191]
	v_mul_f64 v[224:225], v[28:29], s[14:15]
	v_mul_f64 v[198:199], v[250:251], s[44:45]
	;; [unrolled: 1-line block ×5, first 2 shown]
	buffer_store_dword v4, off, s[64:67], 0 offset:296 ; 4-byte Folded Spill
	buffer_store_dword v5, off, s[64:67], 0 offset:300 ; 4-byte Folded Spill
	;; [unrolled: 1-line block ×12, first 2 shown]
	v_fma_f64 v[2:3], v[252:253], s[46:47], v[224:225]
	v_mul_f64 v[180:181], v[106:107], s[20:21]
	v_mul_f64 v[81:82], v[250:251], s[30:31]
	;; [unrolled: 1-line block ×5, first 2 shown]
	v_add_f64 v[2:3], v[35:36], v[2:3]
	v_fma_f64 v[4:5], v[136:137], s[56:57], v[4:5]
	v_fma_f64 v[6:7], v[144:145], s[42:43], v[0:1]
	v_add_f64 v[26:27], v[142:143], v[78:79]
	v_add_f64 v[140:141], v[146:147], -v[64:65]
	v_add_f64 v[166:167], v[142:143], -v[78:79]
	v_add_f64 v[154:155], v[146:147], v[64:65]
	v_mul_f64 v[77:78], v[106:107], s[36:37]
	v_add_f64 v[2:3], v[4:5], v[2:3]
	v_fma_f64 v[4:5], v[69:70], s[14:15], v[198:199]
	v_mul_f64 v[0:1], v[26:27], s[26:27]
	buffer_store_dword v0, off, s[64:67], 0 offset:304 ; 4-byte Folded Spill
	buffer_store_dword v1, off, s[64:67], 0 offset:308 ; 4-byte Folded Spill
	v_add_f64 v[4:5], v[33:34], v[4:5]
	v_mul_f64 v[232:233], v[26:27], s[20:21]
	v_mul_f64 v[228:229], v[166:167], s[54:55]
	;; [unrolled: 1-line block ×6, first 2 shown]
	v_add_f64 v[4:5], v[6:7], v[4:5]
	v_fma_f64 v[6:7], v[140:141], s[48:49], v[0:1]
	v_mul_f64 v[0:1], v[166:167], s[38:39]
	buffer_store_dword v0, off, s[64:67], 0 offset:336 ; 4-byte Folded Spill
	buffer_store_dword v1, off, s[64:67], 0 offset:340 ; 4-byte Folded Spill
	;; [unrolled: 1-line block ×6, first 2 shown]
	v_add_f64 v[2:3], v[6:7], v[2:3]
	buffer_store_dword v57, off, s[64:67], 0 offset:368 ; 4-byte Folded Spill
	buffer_store_dword v58, off, s[64:67], 0 offset:372 ; 4-byte Folded Spill
	;; [unrolled: 1-line block ×4, first 2 shown]
	v_fma_f64 v[6:7], v[154:155], s[26:27], v[0:1]
	v_add_f64 v[22:23], v[134:135], v[59:60]
	v_add_f64 v[20:21], v[134:135], -v[59:60]
	v_add_f64 v[146:147], v[138:139], -v[57:58]
	v_add_f64 v[162:163], v[138:139], v[57:58]
	v_mul_f64 v[57:58], v[28:29], s[26:27]
	v_add_f64 v[4:5], v[6:7], v[4:5]
	v_mul_f64 v[6:7], v[22:23], s[34:35]
	buffer_store_dword v6, off, s[64:67], 0 offset:320 ; 4-byte Folded Spill
	buffer_store_dword v7, off, s[64:67], 0 offset:324 ; 4-byte Folded Spill
	v_mul_f64 v[0:1], v[20:21], s[30:31]
	buffer_store_dword v0, off, s[64:67], 0 offset:360 ; 4-byte Folded Spill
	buffer_store_dword v1, off, s[64:67], 0 offset:364 ; 4-byte Folded Spill
	;; [unrolled: 1-line block ×10, first 2 shown]
	v_mul_f64 v[236:237], v[22:23], s[36:37]
	v_mul_f64 v[230:231], v[20:21], s[50:51]
	;; [unrolled: 1-line block ×6, first 2 shown]
	v_fma_f64 v[6:7], v[146:147], s[60:61], v[6:7]
	v_add_f64 v[2:3], v[6:7], v[2:3]
	v_fma_f64 v[6:7], v[162:163], s[34:35], v[0:1]
	v_add_f64 v[178:179], v[130:131], v[116:117]
	v_add_f64 v[18:19], v[130:131], -v[116:117]
	v_add_f64 v[152:153], v[132:133], -v[118:119]
	v_add_f64 v[170:171], v[132:133], v[118:119]
	v_mul_f64 v[118:119], v[20:21], s[38:39]
	v_add_f64 v[4:5], v[6:7], v[4:5]
	v_mul_f64 v[6:7], v[178:179], s[36:37]
	buffer_store_dword v6, off, s[64:67], 0 offset:328 ; 4-byte Folded Spill
	buffer_store_dword v7, off, s[64:67], 0 offset:332 ; 4-byte Folded Spill
	v_mul_f64 v[0:1], v[18:19], s[24:25]
	buffer_store_dword v0, off, s[64:67], 0 offset:392 ; 4-byte Folded Spill
	buffer_store_dword v1, off, s[64:67], 0 offset:396 ; 4-byte Folded Spill
	;; [unrolled: 1-line block ×10, first 2 shown]
	v_mul_f64 v[244:245], v[178:179], s[42:43]
	v_mul_f64 v[234:235], v[18:19], s[56:57]
	;; [unrolled: 1-line block ×5, first 2 shown]
	v_fma_f64 v[6:7], v[152:153], s[50:51], v[6:7]
	v_add_f64 v[2:3], v[6:7], v[2:3]
	v_fma_f64 v[6:7], v[170:171], s[36:37], v[0:1]
	v_add_f64 v[14:15], v[126:127], v[61:62]
	v_add_f64 v[16:17], v[126:127], -v[61:62]
	v_add_f64 v[182:183], v[128:129], v[100:101]
	v_add_f64 v[160:161], v[128:129], -v[100:101]
	v_mul_f64 v[126:127], v[254:255], s[52:53]
	v_mul_f64 v[61:62], v[178:179], s[34:35]
	v_add_f64 v[4:5], v[6:7], v[4:5]
	v_mul_f64 v[6:7], v[14:15], s[28:29]
	v_mul_f64 v[0:1], v[16:17], s[18:19]
	buffer_store_dword v6, off, s[64:67], 0 offset:352 ; 4-byte Folded Spill
	buffer_store_dword v7, off, s[64:67], 0 offset:356 ; 4-byte Folded Spill
	;; [unrolled: 1-line block ×12, first 2 shown]
	v_mul_f64 v[226:227], v[14:15], s[14:15]
	v_mul_f64 v[238:239], v[16:17], s[44:45]
	;; [unrolled: 1-line block ×7, first 2 shown]
	v_fma_f64 v[6:7], v[160:161], s[58:59], v[6:7]
	v_fma_f64 v[24:25], v[182:183], s[28:29], v[0:1]
	v_add_f64 v[10:11], v[122:123], v[110:111]
	v_add_f64 v[168:169], v[124:125], -v[114:115]
	v_add_f64 v[192:193], v[124:125], v[114:115]
	v_mul_f64 v[124:125], v[250:251], s[40:41]
	v_mul_f64 v[114:115], v[250:251], s[38:39]
	v_add_f64 v[2:3], v[6:7], v[2:3]
	v_add_f64 v[4:5], v[24:25], v[4:5]
	v_mul_f64 v[12:13], v[10:11], s[22:23]
	buffer_store_dword v12, off, s[64:67], 0 offset:376 ; 4-byte Folded Spill
	buffer_store_dword v13, off, s[64:67], 0 offset:380 ; 4-byte Folded Spill
	v_mul_f64 v[240:241], v[10:11], s[34:35]
	v_mul_f64 v[128:129], v[10:11], s[28:29]
	;; [unrolled: 1-line block ×3, first 2 shown]
	v_fma_f64 v[24:25], v[168:169], s[52:53], v[12:13]
	v_add_f64 v[12:13], v[122:123], -v[110:111]
	v_mul_f64 v[110:111], v[26:27], s[42:43]
	v_mul_f64 v[122:123], v[166:167], s[56:57]
	v_add_f64 v[2:3], v[24:25], v[2:3]
	v_mul_f64 v[0:1], v[12:13], s[12:13]
	buffer_store_dword v0, off, s[64:67], 0 offset:416 ; 4-byte Folded Spill
	buffer_store_dword v1, off, s[64:67], 0 offset:420 ; 4-byte Folded Spill
	;; [unrolled: 1-line block ×10, first 2 shown]
	v_mul_f64 v[242:243], v[12:13], s[30:31]
	v_mul_f64 v[142:143], v[12:13], s[58:59]
	;; [unrolled: 1-line block ×3, first 2 shown]
	v_fma_f64 v[24:25], v[192:193], s[22:23], v[0:1]
	v_add_f64 v[8:9], v[98:99], -v[102:103]
	v_add_f64 v[184:185], v[120:121], v[108:109]
	v_add_f64 v[172:173], v[120:121], -v[108:109]
	v_mul_f64 v[120:121], v[106:107], s[22:23]
	v_mul_f64 v[108:109], v[16:17], s[60:61]
	v_add_f64 v[4:5], v[24:25], v[4:5]
	v_mul_f64 v[6:7], v[8:9], s[6:7]
	buffer_store_dword v6, off, s[64:67], 0 offset:408 ; 4-byte Folded Spill
	buffer_store_dword v7, off, s[64:67], 0 offset:412 ; 4-byte Folded Spill
	v_mul_f64 v[246:247], v[8:9], s[12:13]
	v_mul_f64 v[138:139], v[8:9], s[56:57]
	v_fma_f64 v[24:25], v[184:185], s[20:21], v[6:7]
	v_add_f64 v[6:7], v[98:99], v[102:103]
	v_mul_f64 v[103:104], v[22:23], s[26:27]
	v_mul_f64 v[97:98], v[178:179], s[20:21]
	;; [unrolled: 1-line block ×4, first 2 shown]
	v_add_f64 v[4:5], v[24:25], v[4:5]
	v_mul_f64 v[0:1], v[6:7], s[20:21]
	buffer_store_dword v0, off, s[64:67], 0 offset:384 ; 4-byte Folded Spill
	buffer_store_dword v1, off, s[64:67], 0 offset:388 ; 4-byte Folded Spill
	v_mul_f64 v[248:249], v[6:7], s[22:23]
	v_mul_f64 v[132:133], v[6:7], s[42:43]
	;; [unrolled: 1-line block ×3, first 2 shown]
	v_fma_f64 v[24:25], v[172:173], s[54:55], v[0:1]
	v_add_f64 v[2:3], v[24:25], v[2:3]
	v_mul_f64 v[24:25], v[4:5], v[39:40]
	v_mul_f64 v[39:40], v[2:3], v[39:40]
	v_fma_f64 v[2:3], v[2:3], v[37:38], v[24:25]
	v_fma_f64 v[0:1], v[4:5], v[37:38], -v[39:40]
	buffer_store_dword v0, off, s[64:67], 0 ; 4-byte Folded Spill
	buffer_store_dword v1, off, s[64:67], 0 offset:4 ; 4-byte Folded Spill
	buffer_store_dword v2, off, s[64:67], 0 offset:8 ; 4-byte Folded Spill
	;; [unrolled: 1-line block ×3, first 2 shown]
	v_mul_f64 v[0:1], v[106:107], s[34:35]
	buffer_store_dword v0, off, s[64:67], 0 offset:680 ; 4-byte Folded Spill
	buffer_store_dword v1, off, s[64:67], 0 offset:684 ; 4-byte Folded Spill
	v_fma_f64 v[2:3], v[252:253], s[56:57], v[83:84]
	v_add_f64 v[2:3], v[35:36], v[2:3]
	v_fma_f64 v[4:5], v[136:137], s[60:61], v[0:1]
	v_mul_f64 v[0:1], v[254:255], s[30:31]
	buffer_store_dword v0, off, s[64:67], 0 offset:632 ; 4-byte Folded Spill
	buffer_store_dword v1, off, s[64:67], 0 offset:636 ; 4-byte Folded Spill
	v_add_f64 v[2:3], v[4:5], v[2:3]
	v_fma_f64 v[4:5], v[69:70], s[42:43], v[124:125]
	v_fma_f64 v[124:125], v[69:70], s[42:43], -v[124:125]
	v_add_f64 v[4:5], v[33:34], v[4:5]
	v_add_f64 v[124:125], v[33:34], v[124:125]
	v_fma_f64 v[24:25], v[144:145], s[34:35], v[0:1]
	v_mul_f64 v[0:1], v[26:27], s[28:29]
	buffer_store_dword v0, off, s[64:67], 0 offset:688 ; 4-byte Folded Spill
	buffer_store_dword v1, off, s[64:67], 0 offset:692 ; 4-byte Folded Spill
	v_add_f64 v[4:5], v[24:25], v[4:5]
	v_fma_f64 v[24:25], v[140:141], s[58:59], v[0:1]
	v_mul_f64 v[0:1], v[166:167], s[18:19]
	buffer_store_dword v0, off, s[64:67], 0 offset:648 ; 4-byte Folded Spill
	buffer_store_dword v1, off, s[64:67], 0 offset:652 ; 4-byte Folded Spill
	;; [unrolled: 5-line block ×12, first 2 shown]
	v_add_f64 v[4:5], v[24:25], v[4:5]
	v_fma_f64 v[24:25], v[172:173], s[44:45], v[0:1]
	v_add_f64 v[2:3], v[24:25], v[2:3]
	v_mul_f64 v[24:25], v[4:5], v[43:44]
	v_mul_f64 v[37:38], v[2:3], v[43:44]
	v_fma_f64 v[2:3], v[2:3], v[41:42], v[24:25]
	v_fma_f64 v[0:1], v[4:5], v[41:42], -v[37:38]
	buffer_store_dword v0, off, s[64:67], 0 offset:16 ; 4-byte Folded Spill
	buffer_store_dword v1, off, s[64:67], 0 offset:20 ; 4-byte Folded Spill
	;; [unrolled: 1-line block ×4, first 2 shown]
	v_mul_f64 v[0:1], v[106:107], s[28:29]
	buffer_store_dword v0, off, s[64:67], 0 offset:720 ; 4-byte Folded Spill
	buffer_store_dword v1, off, s[64:67], 0 offset:724 ; 4-byte Folded Spill
	v_fma_f64 v[4:5], v[252:253], s[48:49], v[57:58]
	v_mul_f64 v[41:42], v[28:29], s[34:35]
	v_add_f64 v[4:5], v[35:36], v[4:5]
	v_fma_f64 v[24:25], v[136:137], s[58:59], v[0:1]
	v_mul_f64 v[0:1], v[254:255], s[18:19]
	buffer_store_dword v0, off, s[64:67], 0 offset:712 ; 4-byte Folded Spill
	buffer_store_dword v1, off, s[64:67], 0 offset:716 ; 4-byte Folded Spill
	v_add_f64 v[4:5], v[24:25], v[4:5]
	v_fma_f64 v[24:25], v[69:70], s[26:27], v[114:115]
	v_fma_f64 v[114:115], v[69:70], s[26:27], -v[114:115]
	v_add_f64 v[24:25], v[33:34], v[24:25]
	v_add_f64 v[114:115], v[33:34], v[114:115]
	v_fma_f64 v[37:38], v[144:145], s[28:29], v[0:1]
	v_add_f64 v[24:25], v[37:38], v[24:25]
	v_fma_f64 v[37:38], v[140:141], s[6:7], v[232:233]
	;; [unrolled: 2-line block ×13, first 2 shown]
	v_add_f64 v[4:5], v[37:38], v[4:5]
	v_mul_f64 v[37:38], v[24:25], v[47:48]
	v_mul_f64 v[39:40], v[4:5], v[47:48]
	v_fma_f64 v[2:3], v[4:5], v[45:46], v[37:38]
	v_fma_f64 v[4:5], v[252:253], s[60:61], v[41:42]
	v_fma_f64 v[37:38], v[144:145], s[20:21], v[196:197]
	v_mul_f64 v[47:48], v[250:251], s[24:25]
	v_fma_f64 v[41:42], v[252:253], s[30:31], v[41:42]
	v_fma_f64 v[0:1], v[24:25], v[45:46], -v[39:40]
	v_fma_f64 v[24:25], v[136:137], s[54:55], v[180:181]
	v_add_f64 v[4:5], v[35:36], v[4:5]
	buffer_store_dword v0, off, s[64:67], 0 offset:32 ; 4-byte Folded Spill
	buffer_store_dword v1, off, s[64:67], 0 offset:36 ; 4-byte Folded Spill
	buffer_store_dword v2, off, s[64:67], 0 offset:40 ; 4-byte Folded Spill
	buffer_store_dword v3, off, s[64:67], 0 offset:44 ; 4-byte Folded Spill
	v_mul_f64 v[45:46], v[250:251], s[18:19]
	v_add_f64 v[4:5], v[24:25], v[4:5]
	v_fma_f64 v[24:25], v[69:70], s[34:35], v[81:82]
	v_add_f64 v[41:42], v[35:36], v[41:42]
	v_fma_f64 v[81:82], v[69:70], s[34:35], -v[81:82]
	v_add_f64 v[24:25], v[33:34], v[24:25]
	v_add_f64 v[81:82], v[33:34], v[81:82]
	;; [unrolled: 1-line block ×3, first 2 shown]
	v_fma_f64 v[37:38], v[140:141], s[24:25], v[164:165]
	v_add_f64 v[4:5], v[37:38], v[4:5]
	v_fma_f64 v[37:38], v[154:155], s[36:37], v[186:187]
	v_add_f64 v[24:25], v[37:38], v[24:25]
	;; [unrolled: 2-line block ×12, first 2 shown]
	v_mul_f64 v[37:38], v[24:25], v[51:52]
	v_mul_f64 v[39:40], v[4:5], v[51:52]
	v_fma_f64 v[2:3], v[4:5], v[49:50], v[37:38]
	v_fma_f64 v[4:5], v[252:253], s[50:51], v[30:31]
	;; [unrolled: 1-line block ×3, first 2 shown]
	v_mul_f64 v[51:52], v[10:11], s[20:21]
	v_fma_f64 v[30:31], v[252:253], s[24:25], v[30:31]
	v_fma_f64 v[47:48], v[69:70], s[36:37], -v[47:48]
	v_fma_f64 v[0:1], v[24:25], v[49:50], -v[39:40]
	v_fma_f64 v[24:25], v[136:137], s[12:13], v[120:121]
	v_add_f64 v[4:5], v[35:36], v[4:5]
	v_add_f64 v[37:38], v[33:34], v[37:38]
	v_fma_f64 v[39:40], v[144:145], s[22:23], v[126:127]
	buffer_store_dword v0, off, s[64:67], 0 offset:48 ; 4-byte Folded Spill
	buffer_store_dword v1, off, s[64:67], 0 offset:52 ; 4-byte Folded Spill
	;; [unrolled: 1-line block ×4, first 2 shown]
	v_fma_f64 v[49:50], v[168:169], s[54:55], v[51:52]
	v_add_f64 v[24:25], v[24:25], v[4:5]
	v_mul_f64 v[4:5], v[250:251], s[12:13]
	v_add_f64 v[37:38], v[39:40], v[37:38]
	v_fma_f64 v[39:40], v[140:141], s[40:41], v[110:111]
	v_add_f64 v[30:31], v[35:36], v[30:31]
	v_add_f64 v[47:48], v[33:34], v[47:48]
	;; [unrolled: 1-line block ×3, first 2 shown]
	v_fma_f64 v[39:40], v[154:155], s[42:43], v[122:123]
	v_add_f64 v[37:38], v[39:40], v[37:38]
	v_fma_f64 v[39:40], v[146:147], s[48:49], v[103:104]
	v_add_f64 v[24:25], v[39:40], v[24:25]
	;; [unrolled: 2-line block ×11, first 2 shown]
	v_mul_f64 v[39:40], v[37:38], v[194:195]
	v_mul_f64 v[43:44], v[24:25], v[194:195]
	;; [unrolled: 1-line block ×3, first 2 shown]
	v_fma_f64 v[2:3], v[24:25], v[112:113], v[39:40]
	v_fma_f64 v[39:40], v[144:145], s[36:37], v[85:86]
	v_fma_f64 v[0:1], v[37:38], v[112:113], -v[43:44]
	v_fma_f64 v[24:25], v[252:253], s[58:59], v[194:195]
	v_fma_f64 v[37:38], v[136:137], s[24:25], v[77:78]
	v_mul_f64 v[112:113], v[18:19], s[60:61]
	v_fma_f64 v[43:44], v[160:161], s[56:57], v[59:60]
	buffer_store_dword v0, off, s[64:67], 0 offset:88 ; 4-byte Folded Spill
	buffer_store_dword v1, off, s[64:67], 0 offset:92 ; 4-byte Folded Spill
	;; [unrolled: 1-line block ×4, first 2 shown]
	v_add_f64 v[24:25], v[35:36], v[24:25]
	v_add_f64 v[24:25], v[37:38], v[24:25]
	v_fma_f64 v[37:38], v[69:70], s[28:29], v[45:46]
	v_fma_f64 v[45:46], v[69:70], s[28:29], -v[45:46]
	v_add_f64 v[37:38], v[33:34], v[37:38]
	v_add_f64 v[45:46], v[33:34], v[45:46]
	;; [unrolled: 1-line block ×3, first 2 shown]
	v_fma_f64 v[39:40], v[140:141], s[46:47], v[73:74]
	v_add_f64 v[24:25], v[39:40], v[24:25]
	v_fma_f64 v[39:40], v[154:155], s[14:15], v[79:80]
	v_add_f64 v[37:38], v[39:40], v[37:38]
	;; [unrolled: 2-line block ×6, first 2 shown]
	v_add_f64 v[39:40], v[39:40], v[37:38]
	v_fma_f64 v[24:25], v[182:183], s[42:43], v[71:72]
	v_mul_f64 v[37:38], v[106:107], s[26:27]
	v_add_f64 v[200:201], v[49:50], v[43:44]
	v_fma_f64 v[43:44], v[192:193], s[20:21], v[63:64]
	v_add_f64 v[39:40], v[24:25], v[39:40]
	v_mul_f64 v[49:50], v[8:9], s[48:49]
	v_mul_f64 v[24:25], v[6:7], s[36:37]
	v_add_f64 v[39:40], v[43:44], v[39:40]
	v_fma_f64 v[202:203], v[184:185], s[26:27], v[49:50]
	v_mul_f64 v[43:44], v[6:7], s[26:27]
	v_mul_f64 v[6:7], v[6:7], s[34:35]
	v_add_f64 v[0:1], v[202:203], v[39:40]
	v_fma_f64 v[202:203], v[172:173], s[38:39], v[43:44]
	v_mul_f64 v[39:40], v[254:255], s[48:49]
	v_add_f64 v[200:201], v[202:203], v[200:201]
	v_mul_f64 v[202:203], v[0:1], v[150:151]
	v_fma_f64 v[214:215], v[144:145], s[26:27], v[39:40]
	v_mul_f64 v[150:151], v[200:201], v[150:151]
	v_fma_f64 v[2:3], v[200:201], v[148:149], v[202:203]
	v_fma_f64 v[0:1], v[0:1], v[148:149], -v[150:151]
	buffer_store_dword v0, off, s[64:67], 0 offset:128 ; 4-byte Folded Spill
	buffer_store_dword v1, off, s[64:67], 0 offset:132 ; 4-byte Folded Spill
	;; [unrolled: 1-line block ×4, first 2 shown]
	v_mul_f64 v[2:3], v[28:29], s[22:23]
	v_fma_f64 v[150:151], v[136:137], s[38:39], v[37:38]
	v_mul_f64 v[28:29], v[28:29], s[20:21]
	v_fma_f64 v[148:149], v[252:253], s[52:53], v[2:3]
	v_fma_f64 v[2:3], v[252:253], s[12:13], v[2:3]
	v_add_f64 v[148:149], v[35:36], v[148:149]
	v_add_f64 v[2:3], v[35:36], v[2:3]
	;; [unrolled: 1-line block ×3, first 2 shown]
	v_fma_f64 v[150:151], v[69:70], s[22:23], v[4:5]
	v_fma_f64 v[4:5], v[69:70], s[22:23], -v[4:5]
	v_add_f64 v[150:151], v[33:34], v[150:151]
	v_add_f64 v[4:5], v[33:34], v[4:5]
	;; [unrolled: 1-line block ×3, first 2 shown]
	v_mul_f64 v[214:215], v[26:27], s[34:35]
	v_mul_f64 v[26:27], v[26:27], s[22:23]
	v_fma_f64 v[216:217], v[140:141], s[60:61], v[214:215]
	v_add_f64 v[148:149], v[216:217], v[148:149]
	v_mul_f64 v[216:217], v[166:167], s[30:31]
	v_mul_f64 v[166:167], v[166:167], s[12:13]
	v_fma_f64 v[212:213], v[154:155], s[34:35], v[216:217]
	v_add_f64 v[150:151], v[212:213], v[150:151]
	;; [unrolled: 4-line block ×11, first 2 shown]
	v_fma_f64 v[150:151], v[172:173], s[50:51], v[24:25]
	v_add_f64 v[148:149], v[150:151], v[148:149]
	v_mul_f64 v[150:151], v[204:205], v[53:54]
	v_mul_f64 v[53:54], v[148:149], v[53:54]
	v_fma_f64 v[150:151], v[148:149], v[55:56], v[150:151]
	v_fma_f64 v[148:149], v[204:205], v[55:56], -v[53:54]
	v_mul_f64 v[53:54], v[106:107], s[14:15]
	v_fma_f64 v[55:56], v[252:253], s[54:55], v[28:29]
	v_mul_f64 v[204:205], v[254:255], s[46:47]
	v_fma_f64 v[106:107], v[136:137], s[44:45], v[53:54]
	v_add_f64 v[55:56], v[35:36], v[55:56]
	v_fma_f64 v[254:255], v[144:145], s[14:15], v[204:205]
	v_fma_f64 v[53:54], v[136:137], s[46:47], v[53:54]
	v_add_f64 v[55:56], v[106:107], v[55:56]
	v_mul_f64 v[106:107], v[250:251], s[6:7]
	v_fma_f64 v[250:251], v[69:70], s[20:21], v[106:107]
	v_fma_f64 v[106:107], v[69:70], s[20:21], -v[106:107]
	v_fma_f64 v[69:70], v[69:70], s[14:15], -v[198:199]
	v_add_f64 v[250:251], v[33:34], v[250:251]
	v_add_f64 v[106:107], v[33:34], v[106:107]
	;; [unrolled: 1-line block ×4, first 2 shown]
	v_fma_f64 v[254:255], v[140:141], s[52:53], v[26:27]
	v_fma_f64 v[26:27], v[140:141], s[12:13], v[26:27]
	v_add_f64 v[55:56], v[254:255], v[55:56]
	v_fma_f64 v[254:255], v[154:155], s[22:23], v[166:167]
	v_add_f64 v[250:251], v[254:255], v[250:251]
	v_fma_f64 v[254:255], v[146:147], s[40:41], v[22:23]
	v_fma_f64 v[22:23], v[146:147], s[56:57], v[22:23]
	v_add_f64 v[55:56], v[254:255], v[55:56]
	v_fma_f64 v[254:255], v[162:163], s[42:43], v[20:21]
	v_add_f64 v[250:251], v[254:255], v[250:251]
	;; [unrolled: 2-line block ×4, first 2 shown]
	v_fma_f64 v[254:255], v[160:161], s[38:39], v[14:15]
	v_fma_f64 v[14:15], v[160:161], s[48:49], v[14:15]
	v_add_f64 v[55:56], v[254:255], v[55:56]
	v_fma_f64 v[254:255], v[168:169], s[50:51], v[10:11]
	v_fma_f64 v[10:11], v[168:169], s[24:25], v[10:11]
	v_add_f64 v[55:56], v[254:255], v[55:56]
	v_fma_f64 v[254:255], v[182:183], s[26:27], v[16:17]
	v_add_f64 v[250:251], v[254:255], v[250:251]
	v_fma_f64 v[254:255], v[192:193], s[36:37], v[12:13]
	v_fma_f64 v[12:13], v[192:193], s[36:37], -v[12:13]
	v_add_f64 v[250:251], v[254:255], v[250:251]
	v_fma_f64 v[254:255], v[184:185], s[34:35], v[8:9]
	v_fma_f64 v[8:9], v[184:185], s[34:35], -v[8:9]
	v_add_f64 v[250:251], v[254:255], v[250:251]
	v_fma_f64 v[254:255], v[172:173], s[30:31], v[6:7]
	v_fma_f64 v[6:7], v[172:173], s[60:61], v[6:7]
	v_add_f64 v[55:56], v[254:255], v[55:56]
	v_mul_f64 v[254:255], v[250:251], v[95:96]
	v_mul_f64 v[0:1], v[55:56], v[95:96]
	v_fma_f64 v[95:96], v[55:56], v[93:94], v[254:255]
	v_fma_f64 v[55:56], v[252:253], s[38:39], v[57:58]
	;; [unrolled: 1-line block ×4, first 2 shown]
	v_fma_f64 v[93:94], v[250:251], v[93:94], -v[0:1]
	v_fma_f64 v[0:1], v[252:253], s[6:7], v[28:29]
	v_fma_f64 v[28:29], v[252:253], s[18:19], v[194:195]
	v_add_f64 v[55:56], v[35:36], v[55:56]
	v_add_f64 v[57:58], v[35:36], v[57:58]
	;; [unrolled: 1-line block ×8, first 2 shown]
	v_fma_f64 v[22:23], v[152:153], s[18:19], v[178:179]
	v_add_f64 v[0:1], v[22:23], v[0:1]
	v_fma_f64 v[22:23], v[140:141], s[54:55], v[232:233]
	v_add_f64 v[0:1], v[14:15], v[0:1]
	v_fma_f64 v[14:15], v[154:155], s[22:23], -v[166:167]
	v_add_f64 v[0:1], v[10:11], v[0:1]
	v_fma_f64 v[10:11], v[144:145], s[14:15], -v[204:205]
	v_add_f64 v[0:1], v[6:7], v[0:1]
	v_fma_f64 v[6:7], v[136:137], s[48:49], v[37:38]
	v_add_f64 v[10:11], v[10:11], v[106:107]
	v_add_f64 v[2:3], v[6:7], v[2:3]
	v_fma_f64 v[6:7], v[140:141], s[30:31], v[214:215]
	v_add_f64 v[10:11], v[14:15], v[10:11]
	v_fma_f64 v[14:15], v[162:163], s[42:43], -v[20:21]
	v_fma_f64 v[20:21], v[154:155], s[36:37], -v[186:187]
	v_add_f64 v[2:3], v[6:7], v[2:3]
	v_fma_f64 v[6:7], v[146:147], s[58:59], v[212:213]
	v_add_f64 v[10:11], v[14:15], v[10:11]
	v_fma_f64 v[14:15], v[170:171], s[28:29], -v[18:19]
	v_fma_f64 v[18:19], v[140:141], s[50:51], v[164:165]
	v_add_f64 v[2:3], v[6:7], v[2:3]
	v_fma_f64 v[6:7], v[152:153], s[44:45], v[202:203]
	v_add_f64 v[10:11], v[14:15], v[10:11]
	v_fma_f64 v[14:15], v[182:183], s[26:27], -v[16:17]
	v_fma_f64 v[16:17], v[154:155], s[42:43], -v[122:123]
	v_add_f64 v[2:3], v[6:7], v[2:3]
	v_fma_f64 v[6:7], v[160:161], s[6:7], v[218:219]
	v_add_f64 v[10:11], v[14:15], v[10:11]
	v_fma_f64 v[14:15], v[140:141], s[56:57], v[110:111]
	;; [unrolled: 2-line block ×3, first 2 shown]
	v_add_f64 v[10:11], v[12:13], v[10:11]
	v_fma_f64 v[12:13], v[154:155], s[14:15], -v[79:80]
	v_add_f64 v[2:3], v[6:7], v[2:3]
	v_fma_f64 v[6:7], v[144:145], s[26:27], -v[39:40]
	v_add_f64 v[8:9], v[8:9], v[10:11]
	v_fma_f64 v[10:11], v[140:141], s[44:45], v[73:74]
	v_add_f64 v[4:5], v[6:7], v[4:5]
	v_fma_f64 v[6:7], v[154:155], s[34:35], -v[216:217]
	v_add_f64 v[4:5], v[6:7], v[4:5]
	v_fma_f64 v[6:7], v[162:163], s[28:29], -v[200:201]
	;; [unrolled: 2-line block ×6, first 2 shown]
	v_add_f64 v[4:5], v[6:7], v[4:5]
	v_fma_f64 v[6:7], v[172:173], s[24:25], v[24:25]
	v_fma_f64 v[24:25], v[154:155], s[20:21], -v[228:229]
	v_add_f64 v[6:7], v[6:7], v[2:3]
	v_fma_f64 v[2:3], v[136:137], s[50:51], v[77:78]
	v_add_f64 v[2:3], v[2:3], v[28:29]
	v_add_f64 v[2:3], v[10:11], v[2:3]
	v_fma_f64 v[10:11], v[146:147], s[12:13], v[65:66]
	v_add_f64 v[2:3], v[10:11], v[2:3]
	v_fma_f64 v[10:11], v[152:153], s[60:61], v[61:62]
	v_add_f64 v[2:3], v[10:11], v[2:3]
	v_fma_f64 v[10:11], v[160:161], s[40:41], v[59:60]
	v_add_f64 v[2:3], v[10:11], v[2:3]
	v_fma_f64 v[10:11], v[168:169], s[6:7], v[51:52]
	v_add_f64 v[2:3], v[10:11], v[2:3]
	v_fma_f64 v[10:11], v[144:145], s[36:37], -v[85:86]
	v_add_f64 v[10:11], v[10:11], v[45:46]
	v_add_f64 v[10:11], v[12:13], v[10:11]
	v_fma_f64 v[12:13], v[162:163], s[22:23], -v[75:76]
	v_add_f64 v[10:11], v[12:13], v[10:11]
	v_fma_f64 v[12:13], v[170:171], s[34:35], -v[112:113]
	v_add_f64 v[10:11], v[12:13], v[10:11]
	v_fma_f64 v[12:13], v[182:183], s[42:43], -v[71:72]
	v_add_f64 v[10:11], v[12:13], v[10:11]
	v_fma_f64 v[12:13], v[192:193], s[20:21], -v[63:64]
	v_add_f64 v[10:11], v[12:13], v[10:11]
	v_fma_f64 v[12:13], v[184:185], s[26:27], -v[49:50]
	v_add_f64 v[12:13], v[12:13], v[10:11]
	v_fma_f64 v[10:11], v[172:173], s[48:49], v[43:44]
	v_add_f64 v[10:11], v[10:11], v[2:3]
	v_fma_f64 v[2:3], v[136:137], s[52:53], v[120:121]
	v_add_f64 v[2:3], v[2:3], v[30:31]
	v_add_f64 v[2:3], v[14:15], v[2:3]
	v_fma_f64 v[14:15], v[146:147], s[38:39], v[103:104]
	v_add_f64 v[2:3], v[14:15], v[2:3]
	v_fma_f64 v[14:15], v[152:153], s[6:7], v[97:98]
	v_add_f64 v[2:3], v[14:15], v[2:3]
	v_fma_f64 v[14:15], v[160:161], s[60:61], v[89:90]
	v_add_f64 v[2:3], v[14:15], v[2:3]
	v_fma_f64 v[14:15], v[168:169], s[44:45], v[87:88]
	v_add_f64 v[2:3], v[14:15], v[2:3]
	v_fma_f64 v[14:15], v[144:145], s[22:23], -v[126:127]
	v_add_f64 v[14:15], v[14:15], v[47:48]
	v_add_f64 v[14:15], v[16:17], v[14:15]
	v_fma_f64 v[16:17], v[162:163], s[26:27], -v[118:119]
	v_add_f64 v[14:15], v[16:17], v[14:15]
	v_fma_f64 v[16:17], v[170:171], s[20:21], -v[116:117]
	v_add_f64 v[14:15], v[16:17], v[14:15]
	v_fma_f64 v[16:17], v[182:183], s[34:35], -v[108:109]
	v_add_f64 v[14:15], v[16:17], v[14:15]
	v_fma_f64 v[16:17], v[192:193], s[14:15], -v[101:102]
	v_add_f64 v[14:15], v[16:17], v[14:15]
	v_fma_f64 v[16:17], v[184:185], s[28:29], -v[99:100]
	v_add_f64 v[16:17], v[16:17], v[14:15]
	v_fma_f64 v[14:15], v[172:173], s[18:19], v[91:92]
	;; [unrolled: 26-line block ×3, first 2 shown]
	v_add_f64 v[18:19], v[18:19], v[2:3]
	s_clause 0x1
	buffer_load_dword v2, off, s[64:67], 0 offset:720
	buffer_load_dword v3, off, s[64:67], 0 offset:724
	s_waitcnt vmcnt(0)
	v_fma_f64 v[2:3], v[136:137], s[18:19], v[2:3]
	v_add_f64 v[2:3], v[2:3], v[55:56]
	v_mov_b32_e32 v56, 0x227
	v_add_f64 v[2:3], v[22:23], v[2:3]
	v_fma_f64 v[22:23], v[146:147], s[50:51], v[236:237]
	v_add_f64 v[2:3], v[22:23], v[2:3]
	v_fma_f64 v[22:23], v[152:153], s[56:57], v[244:245]
	;; [unrolled: 2-line block ×3, first 2 shown]
	v_add_f64 v[2:3], v[22:23], v[2:3]
	s_clause 0x1
	buffer_load_dword v22, off, s[64:67], 0 offset:712
	buffer_load_dword v23, off, s[64:67], 0 offset:716
	s_waitcnt vmcnt(0)
	v_fma_f64 v[22:23], v[144:145], s[28:29], -v[22:23]
	v_add_f64 v[22:23], v[22:23], v[114:115]
	v_add_f64 v[22:23], v[24:25], v[22:23]
	v_fma_f64 v[24:25], v[162:163], s[36:37], -v[230:231]
	v_add_f64 v[22:23], v[24:25], v[22:23]
	v_fma_f64 v[24:25], v[170:171], s[42:43], -v[234:235]
	;; [unrolled: 2-line block ×3, first 2 shown]
	v_add_f64 v[22:23], v[24:25], v[22:23]
	v_fma_f64 v[24:25], v[168:169], s[30:31], v[240:241]
	v_add_f64 v[2:3], v[24:25], v[2:3]
	v_fma_f64 v[24:25], v[192:193], s[34:35], -v[242:243]
	v_add_f64 v[22:23], v[24:25], v[22:23]
	v_fma_f64 v[24:25], v[184:185], s[22:23], -v[246:247]
	v_add_f64 v[24:25], v[24:25], v[22:23]
	v_fma_f64 v[22:23], v[172:173], s[12:13], v[248:249]
	v_add_f64 v[22:23], v[22:23], v[2:3]
	s_clause 0x7
	buffer_load_dword v2, off, s[64:67], 0 offset:448
	buffer_load_dword v3, off, s[64:67], 0 offset:452
	;; [unrolled: 1-line block ×8, first 2 shown]
	s_waitcnt vmcnt(6)
	v_add_f64 v[2:3], v[188:189], v[2:3]
	s_waitcnt vmcnt(4)
	v_add_f64 v[26:27], v[190:191], v[26:27]
	s_waitcnt vmcnt(2)
	v_fma_f64 v[28:29], v[136:137], s[30:31], v[28:29]
	s_waitcnt vmcnt(0)
	v_add_f64 v[2:3], v[2:3], v[30:31]
	s_clause 0x1
	buffer_load_dword v30, off, s[64:67], 0 offset:464
	buffer_load_dword v31, off, s[64:67], 0 offset:468
	v_add_f64 v[28:29], v[28:29], v[57:58]
	s_waitcnt vmcnt(0)
	v_add_f64 v[26:27], v[26:27], v[30:31]
	s_clause 0x1
	buffer_load_dword v30, off, s[64:67], 0 offset:688
	buffer_load_dword v31, off, s[64:67], 0 offset:692
	s_waitcnt vmcnt(0)
	v_fma_f64 v[30:31], v[140:141], s[18:19], v[30:31]
	v_add_f64 v[28:29], v[30:31], v[28:29]
	s_clause 0x1
	buffer_load_dword v30, off, s[64:67], 0 offset:496
	buffer_load_dword v31, off, s[64:67], 0 offset:500
	s_waitcnt vmcnt(0)
	v_add_f64 v[2:3], v[2:3], v[30:31]
	s_clause 0x1
	buffer_load_dword v30, off, s[64:67], 0 offset:488
	buffer_load_dword v31, off, s[64:67], 0 offset:492
	s_waitcnt vmcnt(0)
	v_add_f64 v[26:27], v[26:27], v[30:31]
	s_clause 0x1
	buffer_load_dword v30, off, s[64:67], 0 offset:696
	buffer_load_dword v31, off, s[64:67], 0 offset:700
	s_waitcnt vmcnt(0)
	v_fma_f64 v[30:31], v[146:147], s[6:7], v[30:31]
	v_add_f64 v[28:29], v[30:31], v[28:29]
	s_clause 0x1
	buffer_load_dword v30, off, s[64:67], 0 offset:520
	buffer_load_dword v31, off, s[64:67], 0 offset:524
	s_waitcnt vmcnt(0)
	v_add_f64 v[2:3], v[2:3], v[30:31]
	s_clause 0x1
	buffer_load_dword v30, off, s[64:67], 0 offset:504
	buffer_load_dword v31, off, s[64:67], 0 offset:508
	;; [unrolled: 16-line block ×3, first 2 shown]
	s_waitcnt vmcnt(0)
	v_add_f64 v[26:27], v[26:27], v[30:31]
	s_clause 0x3
	buffer_load_dword v30, off, s[64:67], 0 offset:632
	buffer_load_dword v31, off, s[64:67], 0 offset:636
	;; [unrolled: 1-line block ×4, first 2 shown]
	s_waitcnt vmcnt(2)
	v_fma_f64 v[30:31], v[144:145], s[34:35], -v[30:31]
	s_waitcnt vmcnt(0)
	v_add_f64 v[2:3], v[2:3], v[37:38]
	s_clause 0x1
	buffer_load_dword v37, off, s[64:67], 0 offset:552
	buffer_load_dword v38, off, s[64:67], 0 offset:556
	v_add_f64 v[30:31], v[30:31], v[124:125]
	s_waitcnt vmcnt(0)
	v_add_f64 v[26:27], v[26:27], v[37:38]
	s_clause 0x1
	buffer_load_dword v37, off, s[64:67], 0 offset:648
	buffer_load_dword v38, off, s[64:67], 0 offset:652
	s_waitcnt vmcnt(0)
	v_fma_f64 v[37:38], v[154:155], s[28:29], -v[37:38]
	v_add_f64 v[30:31], v[37:38], v[30:31]
	s_clause 0x1
	buffer_load_dword v37, off, s[64:67], 0 offset:592
	buffer_load_dword v38, off, s[64:67], 0 offset:596
	s_waitcnt vmcnt(0)
	v_add_f64 v[2:3], v[2:3], v[37:38]
	s_clause 0x1
	buffer_load_dword v37, off, s[64:67], 0 offset:584
	buffer_load_dword v38, off, s[64:67], 0 offset:588
	s_waitcnt vmcnt(0)
	v_add_f64 v[26:27], v[26:27], v[37:38]
	s_clause 0x1
	buffer_load_dword v37, off, s[64:67], 0 offset:656
	buffer_load_dword v38, off, s[64:67], 0 offset:660
	s_waitcnt vmcnt(0)
	v_fma_f64 v[37:38], v[162:163], s[20:21], -v[37:38]
	v_add_f64 v[30:31], v[37:38], v[30:31]
	s_clause 0x1
	buffer_load_dword v37, off, s[64:67], 0 offset:576
	buffer_load_dword v38, off, s[64:67], 0 offset:580
	s_waitcnt vmcnt(0)
	v_add_f64 v[2:3], v[2:3], v[37:38]
	s_clause 0x1
	buffer_load_dword v37, off, s[64:67], 0 offset:560
	buffer_load_dword v38, off, s[64:67], 0 offset:564
	;; [unrolled: 16-line block ×3, first 2 shown]
	s_waitcnt vmcnt(0)
	v_add_f64 v[26:27], v[26:27], v[37:38]
	s_clause 0x1
	buffer_load_dword v37, off, s[64:67], 0 offset:664
	buffer_load_dword v38, off, s[64:67], 0 offset:668
	s_waitcnt vmcnt(0)
	v_fma_f64 v[37:38], v[160:161], s[50:51], v[37:38]
	v_add_f64 v[28:29], v[37:38], v[28:29]
	s_clause 0x1
	buffer_load_dword v37, off, s[64:67], 0 offset:472
	buffer_load_dword v38, off, s[64:67], 0 offset:476
	s_waitcnt vmcnt(0)
	v_add_f64 v[2:3], v[2:3], v[37:38]
	s_clause 0x1
	buffer_load_dword v37, off, s[64:67], 0 offset:456
	buffer_load_dword v38, off, s[64:67], 0 offset:460
	s_waitcnt vmcnt(0)
	v_add_f64 v[26:27], v[26:27], v[37:38]
	s_clause 0x5
	buffer_load_dword v37, off, s[64:67], 0 offset:312
	buffer_load_dword v38, off, s[64:67], 0 offset:316
	;; [unrolled: 1-line block ×6, first 2 shown]
	s_waitcnt vmcnt(4)
	v_fma_f64 v[37:38], v[144:145], s[42:43], -v[37:38]
	s_waitcnt vmcnt(2)
	v_fma_f64 v[39:40], v[136:137], s[40:41], v[39:40]
	s_waitcnt vmcnt(0)
	v_fma_f64 v[41:42], v[182:183], s[36:37], -v[41:42]
	v_add_f64 v[32:33], v[37:38], v[32:33]
	v_add_f64 v[34:35], v[39:40], v[35:36]
	;; [unrolled: 1-line block ×3, first 2 shown]
	s_clause 0x1
	buffer_load_dword v41, off, s[64:67], 0 offset:432
	buffer_load_dword v42, off, s[64:67], 0 offset:436
	s_waitcnt vmcnt(0)
	v_add_f64 v[2:3], v[2:3], v[41:42]
	s_clause 0x1
	buffer_load_dword v41, off, s[64:67], 0 offset:424
	buffer_load_dword v42, off, s[64:67], 0 offset:428
	s_waitcnt vmcnt(0)
	v_add_f64 v[26:27], v[26:27], v[41:42]
	s_clause 0x5
	buffer_load_dword v41, off, s[64:67], 0 offset:304
	buffer_load_dword v42, off, s[64:67], 0 offset:308
	;; [unrolled: 1-line block ×6, first 2 shown]
	s_waitcnt vmcnt(4)
	v_fma_f64 v[41:42], v[140:141], s[38:39], v[41:42]
	s_waitcnt vmcnt(2)
	v_fma_f64 v[43:44], v[154:155], s[26:27], -v[43:44]
	s_waitcnt vmcnt(0)
	v_fma_f64 v[36:37], v[168:169], s[48:49], v[36:37]
	v_add_f64 v[34:35], v[41:42], v[34:35]
	v_add_f64 v[32:33], v[43:44], v[32:33]
	;; [unrolled: 1-line block ×3, first 2 shown]
	s_clause 0x1
	buffer_load_dword v36, off, s[64:67], 0 offset:368
	buffer_load_dword v37, off, s[64:67], 0 offset:372
	s_waitcnt vmcnt(0)
	v_add_f64 v[2:3], v[2:3], v[36:37]
	s_clause 0x1
	buffer_load_dword v36, off, s[64:67], 0 offset:344
	buffer_load_dword v37, off, s[64:67], 0 offset:348
	s_waitcnt vmcnt(0)
	v_add_f64 v[26:27], v[26:27], v[36:37]
	s_clause 0x5
	buffer_load_dword v36, off, s[64:67], 0 offset:320
	buffer_load_dword v37, off, s[64:67], 0 offset:324
	;; [unrolled: 1-line block ×6, first 2 shown]
	s_waitcnt vmcnt(4)
	v_fma_f64 v[36:37], v[146:147], s[30:31], v[36:37]
	s_waitcnt vmcnt(2)
	v_fma_f64 v[38:39], v[162:163], s[34:35], -v[38:39]
	s_waitcnt vmcnt(0)
	v_fma_f64 v[40:41], v[192:193], s[26:27], -v[40:41]
	v_add_f64 v[34:35], v[36:37], v[34:35]
	v_add_f64 v[32:33], v[38:39], v[32:33]
	;; [unrolled: 1-line block ×3, first 2 shown]
	s_clause 0x1
	buffer_load_dword v40, off, s[64:67], 0 offset:288
	buffer_load_dword v41, off, s[64:67], 0 offset:292
	s_waitcnt vmcnt(0)
	v_add_f64 v[2:3], v[2:3], v[40:41]
	s_clause 0x1
	buffer_load_dword v40, off, s[64:67], 0 offset:280
	buffer_load_dword v41, off, s[64:67], 0 offset:284
	s_waitcnt vmcnt(0)
	v_add_f64 v[26:27], v[26:27], v[40:41]
	s_clause 0x5
	buffer_load_dword v40, off, s[64:67], 0 offset:328
	buffer_load_dword v41, off, s[64:67], 0 offset:332
	;; [unrolled: 1-line block ×6, first 2 shown]
	s_waitcnt vmcnt(4)
	v_fma_f64 v[40:41], v[152:153], s[24:25], v[40:41]
	s_waitcnt vmcnt(2)
	v_fma_f64 v[42:43], v[170:171], s[36:37], -v[42:43]
	s_waitcnt vmcnt(0)
	v_fma_f64 v[36:37], v[184:185], s[14:15], -v[36:37]
	v_add_f64 v[34:35], v[40:41], v[34:35]
	v_add_f64 v[32:33], v[42:43], v[32:33]
	;; [unrolled: 1-line block ×3, first 2 shown]
	s_clause 0x1
	buffer_load_dword v36, off, s[64:67], 0 offset:272
	buffer_load_dword v37, off, s[64:67], 0 offset:276
	s_waitcnt vmcnt(0)
	v_add_f64 v[2:3], v[2:3], v[36:37]
	s_clause 0x1
	buffer_load_dword v36, off, s[64:67], 0 offset:264
	buffer_load_dword v37, off, s[64:67], 0 offset:268
	s_waitcnt vmcnt(0)
	v_add_f64 v[26:27], v[26:27], v[36:37]
	s_clause 0x5
	buffer_load_dword v36, off, s[64:67], 0 offset:352
	buffer_load_dword v37, off, s[64:67], 0 offset:356
	;; [unrolled: 1-line block ×6, first 2 shown]
	s_waitcnt vmcnt(4)
	v_fma_f64 v[36:37], v[160:161], s[18:19], v[36:37]
	s_waitcnt vmcnt(2)
	v_fma_f64 v[38:39], v[182:183], s[28:29], -v[38:39]
	s_waitcnt vmcnt(0)
	v_fma_f64 v[40:41], v[172:173], s[46:47], v[40:41]
	v_add_f64 v[34:35], v[36:37], v[34:35]
	v_add_f64 v[32:33], v[38:39], v[32:33]
	;; [unrolled: 1-line block ×3, first 2 shown]
	s_clause 0x1
	buffer_load_dword v40, off, s[64:67], 0 offset:256
	buffer_load_dword v41, off, s[64:67], 0 offset:260
	s_waitcnt vmcnt(0)
	v_add_f64 v[40:41], v[2:3], v[40:41]
	s_clause 0x1
	buffer_load_dword v2, off, s[64:67], 0 offset:248
	buffer_load_dword v3, off, s[64:67], 0 offset:252
	s_waitcnt vmcnt(0)
	v_add_f64 v[42:43], v[26:27], v[2:3]
	s_clause 0x1
	buffer_load_dword v2, off, s[64:67], 0 offset:376
	buffer_load_dword v3, off, s[64:67], 0 offset:380
	s_waitcnt vmcnt(0)
	v_fma_f64 v[26:27], v[168:169], s[12:13], v[2:3]
	s_clause 0xb
	buffer_load_dword v2, off, s[64:67], 0 offset:416
	buffer_load_dword v3, off, s[64:67], 0 offset:420
	;; [unrolled: 1-line block ×12, first 2 shown]
	v_add_f64 v[26:27], v[26:27], v[34:35]
	s_waitcnt vmcnt(10)
	v_fma_f64 v[2:3], v[192:193], s[22:23], -v[2:3]
	s_waitcnt vmcnt(8)
	v_mul_f64 v[36:37], v[8:9], v[38:39]
	v_mul_f64 v[38:39], v[0:1], v[38:39]
	s_waitcnt vmcnt(4)
	v_mul_f64 v[46:47], v[4:5], v[48:49]
	s_waitcnt vmcnt(2)
	v_mul_f64 v[50:51], v[12:13], v[52:53]
	v_mul_f64 v[48:49], v[6:7], v[48:49]
	v_fma_f64 v[44:45], v[184:185], s[20:21], -v[44:45]
	v_add_f64 v[32:33], v[2:3], v[32:33]
	s_waitcnt vmcnt(0)
	v_fma_f64 v[2:3], v[0:1], v[57:58], v[36:37]
	s_clause 0x3
	buffer_load_dword v0, off, s[64:67], 0 offset:384
	buffer_load_dword v1, off, s[64:67], 0 offset:388
	;; [unrolled: 1-line block ×4, first 2 shown]
	v_mul_f64 v[36:37], v[10:11], v[52:53]
	v_add_f64 v[32:33], v[44:45], v[32:33]
	s_waitcnt vmcnt(2)
	v_fma_f64 v[52:53], v[172:173], s[6:7], v[0:1]
	s_waitcnt vmcnt(0)
	v_mul_f64 v[54:55], v[16:17], v[59:60]
	v_fma_f64 v[0:1], v[8:9], v[57:58], -v[38:39]
	v_mul_f64 v[34:35], v[14:15], v[59:60]
	s_clause 0xa
	buffer_load_dword v57, off, s[64:67], 0 offset:176
	buffer_load_dword v58, off, s[64:67], 0 offset:180
	;; [unrolled: 1-line block ×11, first 2 shown]
	s_waitcnt vmcnt(9)
	v_mul_f64 v[38:39], v[20:21], v[57:58]
	s_waitcnt vmcnt(8)
	v_mul_u32_u24_sdwa v8, v8, v56 dst_sel:DWORD dst_unused:UNUSED_PAD src0_sel:WORD_0 src1_sel:DWORD
	v_mul_f64 v[56:57], v[18:19], v[57:58]
	s_waitcnt vmcnt(6)
	v_mul_f64 v[58:59], v[24:25], v[60:61]
	s_waitcnt vmcnt(2)
	v_fma_f64 v[6:7], v[6:7], v[71:72], v[46:47]
	v_fma_f64 v[4:5], v[4:5], v[71:72], -v[48:49]
	s_clause 0x1
	buffer_load_dword v71, off, s[64:67], 0 offset:112
	buffer_load_dword v72, off, s[64:67], 0 offset:116
	v_lshrrev_b32_e32 v8, 16, v8
	v_mul_f64 v[60:61], v[22:23], v[60:61]
	v_mul_f64 v[62:63], v[30:31], v[64:65]
	;; [unrolled: 1-line block ×3, first 2 shown]
	s_waitcnt vmcnt(2)
	v_mul_f64 v[64:65], v[40:41], v[69:70]
	v_mul_lo_u16 v8, 0x121, v8
	v_mul_f64 v[48:49], v[42:43], v[69:70]
	v_add_nc_u32_sdwa v66, v105, v8 dst_sel:DWORD dst_unused:UNUSED_PAD src0_sel:DWORD src1_sel:WORD_0
	v_mad_u64_u32 v[44:45], null, s0, v66, 0
	s_waitcnt vmcnt(0)
	v_fma_f64 v[8:9], v[12:13], v[71:72], -v[36:37]
	s_clause 0x1
	buffer_load_dword v12, off, s[64:67], 0 offset:120
	buffer_load_dword v13, off, s[64:67], 0 offset:124
	v_add_f64 v[36:37], v[52:53], v[26:27]
	v_fma_f64 v[10:11], v[10:11], v[71:72], v[50:51]
	v_add_nc_u32_e32 v50, 34, v66
	s_waitcnt vmcnt(0)
	v_fma_f64 v[14:15], v[14:15], v[12:13], v[54:55]
	v_fma_f64 v[12:13], v[16:17], v[12:13], -v[34:35]
	s_clause 0x1
	buffer_load_dword v16, off, s[64:67], 0 offset:144
	buffer_load_dword v17, off, s[64:67], 0 offset:148
	v_mov_b32_e32 v34, v68
	s_waitcnt vmcnt(0)
	v_fma_f64 v[18:19], v[18:19], v[16:17], v[38:39]
	v_fma_f64 v[16:17], v[20:21], v[16:17], -v[56:57]
	s_clause 0x1
	buffer_load_dword v20, off, s[64:67], 0 offset:160
	buffer_load_dword v21, off, s[64:67], 0 offset:164
	s_waitcnt vmcnt(0)
	v_fma_f64 v[22:23], v[22:23], v[20:21], v[58:59]
	v_fma_f64 v[20:21], v[24:25], v[20:21], -v[60:61]
	s_clause 0x1
	buffer_load_dword v24, off, s[64:67], 0 offset:168
	buffer_load_dword v25, off, s[64:67], 0 offset:172
	s_waitcnt vmcnt(0)
	v_fma_f64 v[26:27], v[28:29], v[24:25], v[62:63]
	v_mov_b32_e32 v28, v45
	buffer_load_dword v29, off, s[64:67], 0 offset:192 ; 4-byte Folded Reload
	v_fma_f64 v[24:25], v[30:31], v[24:25], -v[46:47]
	s_clause 0x1
	buffer_load_dword v45, off, s[64:67], 0 offset:64
	buffer_load_dword v46, off, s[64:67], 0 offset:68
	s_waitcnt vmcnt(2)
	v_mad_u64_u32 v[34:35], null, s3, v29, v[34:35]
	s_waitcnt vmcnt(0)
	v_fma_f64 v[30:31], v[42:43], v[45:46], v[64:65]
	v_mad_u64_u32 v[38:39], null, s1, v66, v[28:29]
	v_fma_f64 v[28:29], v[40:41], v[45:46], -v[48:49]
	s_clause 0x3
	buffer_load_dword v45, off, s[64:67], 0 offset:152
	buffer_load_dword v46, off, s[64:67], 0 offset:156
	;; [unrolled: 1-line block ×4, first 2 shown]
	v_add_nc_u32_e32 v43, 17, v66
	v_mov_b32_e32 v68, v34
	s_lshl_b64 s[2:3], s[10:11], 4
	v_mad_u64_u32 v[48:49], null, s0, v50, 0
	v_mad_u64_u32 v[41:42], null, s0, v43, 0
	v_lshlrev_b64 v[34:35], 4, v[67:68]
	s_add_u32 s2, s4, s2
	s_addc_u32 s3, s5, s3
	v_add_co_u32 v52, vcc_lo, s2, v34
	v_add_co_ci_u32_e32 v53, vcc_lo, s3, v35, vcc_lo
	s_waitcnt vmcnt(2)
	v_mul_f64 v[39:40], v[45:46], v[32:33]
	v_mul_f64 v[46:47], v[45:46], v[36:37]
	v_mov_b32_e32 v45, v38
	v_mov_b32_e32 v38, v42
	v_lshlrev_b64 v[34:35], 4, v[44:45]
	v_add_nc_u32_e32 v45, 51, v66
	v_mad_u64_u32 v[42:43], null, s1, v43, v[38:39]
	v_mov_b32_e32 v38, v49
	v_add_co_u32 v43, vcc_lo, v52, v34
	v_add_co_ci_u32_e32 v44, vcc_lo, v53, v35, vcc_lo
	v_mad_u64_u32 v[49:50], null, s1, v50, v[38:39]
	s_waitcnt vmcnt(0)
	v_fma_f64 v[32:33], v[54:55], v[32:33], -v[46:47]
	v_mad_u64_u32 v[50:51], null, s0, v45, 0
	global_store_dwordx4 v[43:44], v[28:31], off
	v_add_nc_u32_e32 v43, 0x44, v66
	v_fma_f64 v[34:35], v[54:55], v[36:37], v[39:40]
	v_lshlrev_b64 v[28:29], 4, v[41:42]
	v_add_nc_u32_e32 v44, 0x55, v66
	v_lshlrev_b64 v[38:39], 4, v[48:49]
	v_mov_b32_e32 v30, v51
	v_mad_u64_u32 v[36:37], null, s0, v43, 0
	v_add_co_u32 v28, vcc_lo, v52, v28
	v_mad_u64_u32 v[30:31], null, s1, v45, v[30:31]
	v_add_co_ci_u32_e32 v29, vcc_lo, v53, v29, vcc_lo
	v_mov_b32_e32 v31, v37
	v_mad_u64_u32 v[40:41], null, s0, v44, 0
	v_add_co_u32 v37, vcc_lo, v52, v38
	v_mov_b32_e32 v51, v30
	v_mad_u64_u32 v[30:31], null, s1, v43, v[31:32]
	v_add_co_ci_u32_e32 v38, vcc_lo, v53, v39, vcc_lo
	v_add_nc_u32_e32 v39, 0x66, v66
	v_mov_b32_e32 v31, v41
	global_store_dwordx4 v[28:29], v[32:35], off
	global_store_dwordx4 v[37:38], v[24:27], off
	v_lshlrev_b64 v[24:25], 4, v[50:51]
	v_mov_b32_e32 v37, v30
	v_mad_u64_u32 v[42:43], null, s0, v39, 0
	v_mad_u64_u32 v[26:27], null, s1, v44, v[31:32]
	v_lshlrev_b64 v[28:29], 4, v[36:37]
	v_add_co_u32 v24, vcc_lo, v52, v24
	v_add_co_ci_u32_e32 v25, vcc_lo, v53, v25, vcc_lo
	v_mov_b32_e32 v27, v43
	v_mov_b32_e32 v41, v26
	v_add_nc_u32_e32 v30, 0x77, v66
	global_store_dwordx4 v[24:25], v[20:23], off
	v_add_nc_u32_e32 v31, 0x99, v66
	v_mad_u64_u32 v[26:27], null, s1, v39, v[27:28]
	v_add_co_u32 v27, vcc_lo, v52, v28
	v_mad_u64_u32 v[22:23], null, s0, v30, 0
	v_lshlrev_b64 v[20:21], 4, v[40:41]
	v_add_co_ci_u32_e32 v28, vcc_lo, v53, v29, vcc_lo
	v_mov_b32_e32 v43, v26
	v_add_nc_u32_e32 v29, 0x88, v66
	v_add_nc_u32_e32 v32, 0xaa, v66
	global_store_dwordx4 v[27:28], v[16:19], off
	v_add_co_u32 v16, vcc_lo, v52, v20
	v_lshlrev_b64 v[19:20], 4, v[42:43]
	v_mad_u64_u32 v[24:25], null, s0, v29, 0
	v_mov_b32_e32 v18, v23
	v_add_co_ci_u32_e32 v17, vcc_lo, v53, v21, vcc_lo
	v_mad_u64_u32 v[26:27], null, s1, v30, v[18:19]
	v_add_co_u32 v18, vcc_lo, v52, v19
	v_add_co_ci_u32_e32 v19, vcc_lo, v53, v20, vcc_lo
	v_mov_b32_e32 v20, v25
	v_mad_u64_u32 v[27:28], null, s0, v31, 0
	global_store_dwordx4 v[16:17], v[12:15], off
	v_mov_b32_e32 v23, v26
	v_mad_u64_u32 v[20:21], null, s1, v29, v[20:21]
	v_mad_u64_u32 v[29:30], null, s0, v32, 0
	v_mov_b32_e32 v12, v28
	global_store_dwordx4 v[18:19], v[8:11], off
	v_lshlrev_b64 v[8:9], 4, v[22:23]
	v_add_nc_u32_e32 v17, 0xbb, v66
	v_mov_b32_e32 v25, v20
	v_mad_u64_u32 v[10:11], null, s1, v31, v[12:13]
	v_mov_b32_e32 v11, v30
	v_add_co_u32 v8, vcc_lo, v52, v8
	v_lshlrev_b64 v[12:13], 4, v[24:25]
	v_add_co_ci_u32_e32 v9, vcc_lo, v53, v9, vcc_lo
	v_mov_b32_e32 v28, v10
	v_mad_u64_u32 v[14:15], null, s1, v32, v[11:12]
	v_mad_u64_u32 v[15:16], null, s0, v17, 0
	v_add_co_u32 v10, vcc_lo, v52, v12
	v_add_co_ci_u32_e32 v11, vcc_lo, v53, v13, vcc_lo
	v_mov_b32_e32 v30, v14
	global_store_dwordx4 v[8:9], v[4:7], off
	v_lshlrev_b64 v[5:6], 4, v[27:28]
	v_mov_b32_e32 v4, v16
	global_store_dwordx4 v[10:11], v[0:3], off
	v_lshlrev_b64 v[0:1], 4, v[29:30]
	v_add_nc_u32_e32 v9, 0xcc, v66
	v_add_nc_u32_e32 v11, 0xdd, v66
	v_mad_u64_u32 v[2:3], null, s1, v17, v[4:5]
	v_add_co_u32 v3, vcc_lo, v52, v5
	v_add_co_ci_u32_e32 v4, vcc_lo, v53, v6, vcc_lo
	v_add_co_u32 v0, vcc_lo, v52, v0
	v_add_co_ci_u32_e32 v1, vcc_lo, v53, v1, vcc_lo
	global_store_dwordx4 v[3:4], v[93:96], off
	v_mad_u64_u32 v[5:6], null, s0, v9, 0
	global_store_dwordx4 v[0:1], v[148:151], off
	s_clause 0x3
	buffer_load_dword v17, off, s[64:67], 0 offset:128
	buffer_load_dword v18, off, s[64:67], 0 offset:132
	;; [unrolled: 1-line block ×4, first 2 shown]
	v_add_nc_u32_e32 v12, 0xee, v66
	v_mov_b32_e32 v16, v2
	v_mad_u64_u32 v[2:3], null, s0, v11, 0
	v_mov_b32_e32 v4, v6
	v_mad_u64_u32 v[7:8], null, s0, v12, 0
	v_lshlrev_b64 v[0:1], 4, v[15:16]
	v_add_nc_u32_e32 v15, 0xff, v66
	v_mad_u64_u32 v[9:10], null, s1, v9, v[4:5]
	v_mad_u64_u32 v[3:4], null, s1, v11, v[3:4]
	v_mov_b32_e32 v4, v8
	v_mad_u64_u32 v[10:11], null, s0, v15, 0
	v_add_co_u32 v0, vcc_lo, v52, v0
	v_add_nc_u32_e32 v16, 0x110, v66
	v_add_co_ci_u32_e32 v1, vcc_lo, v53, v1, vcc_lo
	v_mad_u64_u32 v[12:13], null, s1, v12, v[4:5]
	v_mad_u64_u32 v[13:14], null, s0, v16, 0
	v_mov_b32_e32 v6, v9
	v_lshlrev_b64 v[2:3], 4, v[2:3]
	v_mov_b32_e32 v8, v12
	v_lshlrev_b64 v[4:5], 4, v[5:6]
	v_lshlrev_b64 v[6:7], 4, v[7:8]
	v_add_co_u32 v4, vcc_lo, v52, v4
	v_add_co_ci_u32_e32 v5, vcc_lo, v53, v5, vcc_lo
	s_waitcnt vmcnt(0)
	global_store_dwordx4 v[0:1], v[17:20], off
	v_mov_b32_e32 v0, v11
	v_mad_u64_u32 v[0:1], null, s1, v15, v[0:1]
	v_mov_b32_e32 v1, v14
	v_mad_u64_u32 v[14:15], null, s1, v16, v[1:2]
	v_mov_b32_e32 v11, v0
	v_add_co_u32 v0, vcc_lo, v52, v2
	v_add_co_ci_u32_e32 v1, vcc_lo, v53, v3, vcc_lo
	v_lshlrev_b64 v[2:3], 4, v[10:11]
	v_lshlrev_b64 v[8:9], 4, v[13:14]
	s_clause 0x3
	buffer_load_dword v10, off, s[64:67], 0 offset:88
	buffer_load_dword v11, off, s[64:67], 0 offset:92
	;; [unrolled: 1-line block ×4, first 2 shown]
	v_add_co_u32 v6, vcc_lo, v52, v6
	v_add_co_ci_u32_e32 v7, vcc_lo, v53, v7, vcc_lo
	v_add_co_u32 v2, vcc_lo, v52, v2
	v_add_co_ci_u32_e32 v3, vcc_lo, v53, v3, vcc_lo
	;; [unrolled: 2-line block ×3, first 2 shown]
	s_waitcnt vmcnt(0)
	global_store_dwordx4 v[4:5], v[10:13], off
	s_clause 0x3
	buffer_load_dword v10, off, s[64:67], 0 offset:48
	buffer_load_dword v11, off, s[64:67], 0 offset:52
	buffer_load_dword v12, off, s[64:67], 0 offset:56
	buffer_load_dword v13, off, s[64:67], 0 offset:60
	s_waitcnt vmcnt(0)
	global_store_dwordx4 v[0:1], v[10:13], off
	s_clause 0x3
	buffer_load_dword v10, off, s[64:67], 0 offset:32
	buffer_load_dword v11, off, s[64:67], 0 offset:36
	buffer_load_dword v12, off, s[64:67], 0 offset:40
	buffer_load_dword v13, off, s[64:67], 0 offset:44
	;; [unrolled: 7-line block ×3, first 2 shown]
	s_waitcnt vmcnt(0)
	global_store_dwordx4 v[2:3], v[4:7], off
	s_clause 0x3
	buffer_load_dword v0, off, s[64:67], 0
	buffer_load_dword v1, off, s[64:67], 0 offset:4
	buffer_load_dword v2, off, s[64:67], 0 offset:8
	;; [unrolled: 1-line block ×3, first 2 shown]
	s_waitcnt vmcnt(0)
	global_store_dwordx4 v[8:9], v[0:3], off
.LBB0_14:
	s_endpgm
	.section	.rodata,"a",@progbits
	.p2align	6, 0x0
	.amdhsa_kernel fft_rtc_fwd_len289_factors_17_17_wgs_119_tpt_17_dp_ip_CI_sbcc_twdbase8_2step_dirReg_intrinsicRead
		.amdhsa_group_segment_fixed_size 0
		.amdhsa_private_segment_fixed_size 732
		.amdhsa_kernarg_size 96
		.amdhsa_user_sgpr_count 6
		.amdhsa_user_sgpr_private_segment_buffer 1
		.amdhsa_user_sgpr_dispatch_ptr 0
		.amdhsa_user_sgpr_queue_ptr 0
		.amdhsa_user_sgpr_kernarg_segment_ptr 1
		.amdhsa_user_sgpr_dispatch_id 0
		.amdhsa_user_sgpr_flat_scratch_init 0
		.amdhsa_user_sgpr_private_segment_size 0
		.amdhsa_wavefront_size32 1
		.amdhsa_uses_dynamic_stack 0
		.amdhsa_system_sgpr_private_segment_wavefront_offset 1
		.amdhsa_system_sgpr_workgroup_id_x 1
		.amdhsa_system_sgpr_workgroup_id_y 0
		.amdhsa_system_sgpr_workgroup_id_z 0
		.amdhsa_system_sgpr_workgroup_info 0
		.amdhsa_system_vgpr_workitem_id 0
		.amdhsa_next_free_vgpr 256
		.amdhsa_next_free_sgpr 68
		.amdhsa_reserve_vcc 1
		.amdhsa_reserve_flat_scratch 0
		.amdhsa_float_round_mode_32 0
		.amdhsa_float_round_mode_16_64 0
		.amdhsa_float_denorm_mode_32 3
		.amdhsa_float_denorm_mode_16_64 3
		.amdhsa_dx10_clamp 1
		.amdhsa_ieee_mode 1
		.amdhsa_fp16_overflow 0
		.amdhsa_workgroup_processor_mode 1
		.amdhsa_memory_ordered 1
		.amdhsa_forward_progress 0
		.amdhsa_shared_vgpr_count 0
		.amdhsa_exception_fp_ieee_invalid_op 0
		.amdhsa_exception_fp_denorm_src 0
		.amdhsa_exception_fp_ieee_div_zero 0
		.amdhsa_exception_fp_ieee_overflow 0
		.amdhsa_exception_fp_ieee_underflow 0
		.amdhsa_exception_fp_ieee_inexact 0
		.amdhsa_exception_int_div_zero 0
	.end_amdhsa_kernel
	.text
.Lfunc_end0:
	.size	fft_rtc_fwd_len289_factors_17_17_wgs_119_tpt_17_dp_ip_CI_sbcc_twdbase8_2step_dirReg_intrinsicRead, .Lfunc_end0-fft_rtc_fwd_len289_factors_17_17_wgs_119_tpt_17_dp_ip_CI_sbcc_twdbase8_2step_dirReg_intrinsicRead
                                        ; -- End function
	.section	.AMDGPU.csdata,"",@progbits
; Kernel info:
; codeLenInByte = 21808
; NumSgprs: 70
; NumVgprs: 256
; ScratchSize: 732
; MemoryBound: 0
; FloatMode: 240
; IeeeMode: 1
; LDSByteSize: 0 bytes/workgroup (compile time only)
; SGPRBlocks: 8
; VGPRBlocks: 31
; NumSGPRsForWavesPerEU: 70
; NumVGPRsForWavesPerEU: 256
; Occupancy: 4
; WaveLimiterHint : 1
; COMPUTE_PGM_RSRC2:SCRATCH_EN: 1
; COMPUTE_PGM_RSRC2:USER_SGPR: 6
; COMPUTE_PGM_RSRC2:TRAP_HANDLER: 0
; COMPUTE_PGM_RSRC2:TGID_X_EN: 1
; COMPUTE_PGM_RSRC2:TGID_Y_EN: 0
; COMPUTE_PGM_RSRC2:TGID_Z_EN: 0
; COMPUTE_PGM_RSRC2:TIDIG_COMP_CNT: 0
	.text
	.p2alignl 6, 3214868480
	.fill 48, 4, 3214868480
	.type	__hip_cuid_7a85f51a1726fa59,@object ; @__hip_cuid_7a85f51a1726fa59
	.section	.bss,"aw",@nobits
	.globl	__hip_cuid_7a85f51a1726fa59
__hip_cuid_7a85f51a1726fa59:
	.byte	0                               ; 0x0
	.size	__hip_cuid_7a85f51a1726fa59, 1

	.ident	"AMD clang version 19.0.0git (https://github.com/RadeonOpenCompute/llvm-project roc-6.4.0 25133 c7fe45cf4b819c5991fe208aaa96edf142730f1d)"
	.section	".note.GNU-stack","",@progbits
	.addrsig
	.addrsig_sym __hip_cuid_7a85f51a1726fa59
	.amdgpu_metadata
---
amdhsa.kernels:
  - .args:
      - .actual_access:  read_only
        .address_space:  global
        .offset:         0
        .size:           8
        .value_kind:     global_buffer
      - .address_space:  global
        .offset:         8
        .size:           8
        .value_kind:     global_buffer
      - .offset:         16
        .size:           8
        .value_kind:     by_value
      - .actual_access:  read_only
        .address_space:  global
        .offset:         24
        .size:           8
        .value_kind:     global_buffer
      - .actual_access:  read_only
        .address_space:  global
        .offset:         32
        .size:           8
        .value_kind:     global_buffer
      - .offset:         40
        .size:           8
        .value_kind:     by_value
      - .actual_access:  read_only
        .address_space:  global
        .offset:         48
        .size:           8
        .value_kind:     global_buffer
      - .actual_access:  read_only
        .address_space:  global
        .offset:         56
        .size:           8
        .value_kind:     global_buffer
      - .offset:         64
        .size:           4
        .value_kind:     by_value
      - .actual_access:  read_only
        .address_space:  global
        .offset:         72
        .size:           8
        .value_kind:     global_buffer
      - .actual_access:  read_only
        .address_space:  global
        .offset:         80
        .size:           8
        .value_kind:     global_buffer
      - .address_space:  global
        .offset:         88
        .size:           8
        .value_kind:     global_buffer
    .group_segment_fixed_size: 0
    .kernarg_segment_align: 8
    .kernarg_segment_size: 96
    .language:       OpenCL C
    .language_version:
      - 2
      - 0
    .max_flat_workgroup_size: 119
    .name:           fft_rtc_fwd_len289_factors_17_17_wgs_119_tpt_17_dp_ip_CI_sbcc_twdbase8_2step_dirReg_intrinsicRead
    .private_segment_fixed_size: 732
    .sgpr_count:     70
    .sgpr_spill_count: 0
    .symbol:         fft_rtc_fwd_len289_factors_17_17_wgs_119_tpt_17_dp_ip_CI_sbcc_twdbase8_2step_dirReg_intrinsicRead.kd
    .uniform_work_group_size: 1
    .uses_dynamic_stack: false
    .vgpr_count:     256
    .vgpr_spill_count: 182
    .wavefront_size: 32
    .workgroup_processor_mode: 1
amdhsa.target:   amdgcn-amd-amdhsa--gfx1030
amdhsa.version:
  - 1
  - 2
...

	.end_amdgpu_metadata
